;; amdgpu-corpus repo=ROCm/rocFFT kind=compiled arch=gfx1100 opt=O3
	.text
	.amdgcn_target "amdgcn-amd-amdhsa--gfx1100"
	.amdhsa_code_object_version 6
	.protected	fft_rtc_back_len150_factors_10_5_3_wgs_60_tpt_5_halfLds_half_op_CI_CI_unitstride_sbrr_C2R_dirReg ; -- Begin function fft_rtc_back_len150_factors_10_5_3_wgs_60_tpt_5_halfLds_half_op_CI_CI_unitstride_sbrr_C2R_dirReg
	.globl	fft_rtc_back_len150_factors_10_5_3_wgs_60_tpt_5_halfLds_half_op_CI_CI_unitstride_sbrr_C2R_dirReg
	.p2align	8
	.type	fft_rtc_back_len150_factors_10_5_3_wgs_60_tpt_5_halfLds_half_op_CI_CI_unitstride_sbrr_C2R_dirReg,@function
fft_rtc_back_len150_factors_10_5_3_wgs_60_tpt_5_halfLds_half_op_CI_CI_unitstride_sbrr_C2R_dirReg: ; @fft_rtc_back_len150_factors_10_5_3_wgs_60_tpt_5_halfLds_half_op_CI_CI_unitstride_sbrr_C2R_dirReg
; %bb.0:
	s_load_b128 s[8:11], s[0:1], 0x0
	v_mul_u32_u24_e32 v1, 0x3334, v0
	s_clause 0x1
	s_load_b128 s[4:7], s[0:1], 0x58
	s_load_b128 s[16:19], s[0:1], 0x18
	v_mov_b32_e32 v5, 0
	v_lshrrev_b32_e32 v6, 16, v1
	v_mov_b32_e32 v1, 0
	v_mov_b32_e32 v2, 0
	s_delay_alu instid0(VALU_DEP_3) | instskip(NEXT) | instid1(VALU_DEP_2)
	v_mad_u64_u32 v[3:4], null, s15, 12, v[6:7]
	v_dual_mov_b32 v4, v5 :: v_dual_mov_b32 v19, v2
	s_delay_alu instid0(VALU_DEP_1) | instskip(NEXT) | instid1(VALU_DEP_3)
	v_dual_mov_b32 v18, v1 :: v_dual_mov_b32 v23, v4
	v_mov_b32_e32 v22, v3
	s_waitcnt lgkmcnt(0)
	v_cmp_lt_u64_e64 s2, s[10:11], 2
	s_delay_alu instid0(VALU_DEP_1)
	s_and_b32 vcc_lo, exec_lo, s2
	s_cbranch_vccnz .LBB0_8
; %bb.1:
	s_load_b64 s[2:3], s[0:1], 0x10
	v_dual_mov_b32 v1, 0 :: v_dual_mov_b32 v8, v4
	v_dual_mov_b32 v2, 0 :: v_dual_mov_b32 v7, v3
	s_add_u32 s12, s18, 8
	s_addc_u32 s13, s19, 0
	s_add_u32 s14, s16, 8
	s_delay_alu instid0(VALU_DEP_1)
	v_dual_mov_b32 v19, v2 :: v_dual_mov_b32 v18, v1
	s_addc_u32 s15, s17, 0
	s_mov_b64 s[22:23], 1
	s_waitcnt lgkmcnt(0)
	s_add_u32 s20, s2, 8
	s_addc_u32 s21, s3, 0
.LBB0_2:                                ; =>This Inner Loop Header: Depth=1
	s_load_b64 s[24:25], s[20:21], 0x0
                                        ; implicit-def: $vgpr22_vgpr23
	s_mov_b32 s2, exec_lo
	s_waitcnt lgkmcnt(0)
	v_or_b32_e32 v6, s25, v8
	s_delay_alu instid0(VALU_DEP_1)
	v_cmpx_ne_u64_e32 0, v[5:6]
	s_xor_b32 s3, exec_lo, s2
	s_cbranch_execz .LBB0_4
; %bb.3:                                ;   in Loop: Header=BB0_2 Depth=1
	v_cvt_f32_u32_e32 v4, s24
	v_cvt_f32_u32_e32 v6, s25
	s_sub_u32 s2, 0, s24
	s_subb_u32 s26, 0, s25
	s_delay_alu instid0(VALU_DEP_1) | instskip(NEXT) | instid1(VALU_DEP_1)
	v_fmac_f32_e32 v4, 0x4f800000, v6
	v_rcp_f32_e32 v4, v4
	s_waitcnt_depctr 0xfff
	v_mul_f32_e32 v4, 0x5f7ffffc, v4
	s_delay_alu instid0(VALU_DEP_1) | instskip(NEXT) | instid1(VALU_DEP_1)
	v_mul_f32_e32 v6, 0x2f800000, v4
	v_trunc_f32_e32 v6, v6
	s_delay_alu instid0(VALU_DEP_1) | instskip(SKIP_1) | instid1(VALU_DEP_2)
	v_fmac_f32_e32 v4, 0xcf800000, v6
	v_cvt_u32_f32_e32 v6, v6
	v_cvt_u32_f32_e32 v4, v4
	s_delay_alu instid0(VALU_DEP_2) | instskip(NEXT) | instid1(VALU_DEP_2)
	v_mul_lo_u32 v9, s2, v6
	v_mul_hi_u32 v10, s2, v4
	v_mul_lo_u32 v11, s26, v4
	s_delay_alu instid0(VALU_DEP_2) | instskip(SKIP_1) | instid1(VALU_DEP_2)
	v_add_nc_u32_e32 v9, v10, v9
	v_mul_lo_u32 v10, s2, v4
	v_add_nc_u32_e32 v9, v9, v11
	s_delay_alu instid0(VALU_DEP_2) | instskip(NEXT) | instid1(VALU_DEP_2)
	v_mul_hi_u32 v11, v4, v10
	v_mul_lo_u32 v12, v4, v9
	v_mul_hi_u32 v13, v4, v9
	v_mul_hi_u32 v14, v6, v10
	v_mul_lo_u32 v10, v6, v10
	v_mul_hi_u32 v15, v6, v9
	v_mul_lo_u32 v9, v6, v9
	v_add_co_u32 v11, vcc_lo, v11, v12
	v_add_co_ci_u32_e32 v12, vcc_lo, 0, v13, vcc_lo
	s_delay_alu instid0(VALU_DEP_2) | instskip(NEXT) | instid1(VALU_DEP_2)
	v_add_co_u32 v10, vcc_lo, v11, v10
	v_add_co_ci_u32_e32 v10, vcc_lo, v12, v14, vcc_lo
	v_add_co_ci_u32_e32 v11, vcc_lo, 0, v15, vcc_lo
	s_delay_alu instid0(VALU_DEP_2) | instskip(NEXT) | instid1(VALU_DEP_2)
	v_add_co_u32 v9, vcc_lo, v10, v9
	v_add_co_ci_u32_e32 v10, vcc_lo, 0, v11, vcc_lo
	s_delay_alu instid0(VALU_DEP_2) | instskip(NEXT) | instid1(VALU_DEP_2)
	v_add_co_u32 v4, vcc_lo, v4, v9
	v_add_co_ci_u32_e32 v6, vcc_lo, v6, v10, vcc_lo
	s_delay_alu instid0(VALU_DEP_2) | instskip(SKIP_1) | instid1(VALU_DEP_3)
	v_mul_hi_u32 v9, s2, v4
	v_mul_lo_u32 v11, s26, v4
	v_mul_lo_u32 v10, s2, v6
	s_delay_alu instid0(VALU_DEP_1) | instskip(SKIP_1) | instid1(VALU_DEP_2)
	v_add_nc_u32_e32 v9, v9, v10
	v_mul_lo_u32 v10, s2, v4
	v_add_nc_u32_e32 v9, v9, v11
	s_delay_alu instid0(VALU_DEP_2) | instskip(NEXT) | instid1(VALU_DEP_2)
	v_mul_hi_u32 v11, v4, v10
	v_mul_lo_u32 v12, v4, v9
	v_mul_hi_u32 v13, v4, v9
	v_mul_hi_u32 v14, v6, v10
	v_mul_lo_u32 v10, v6, v10
	v_mul_hi_u32 v15, v6, v9
	v_mul_lo_u32 v9, v6, v9
	v_add_co_u32 v11, vcc_lo, v11, v12
	v_add_co_ci_u32_e32 v12, vcc_lo, 0, v13, vcc_lo
	s_delay_alu instid0(VALU_DEP_2) | instskip(NEXT) | instid1(VALU_DEP_2)
	v_add_co_u32 v10, vcc_lo, v11, v10
	v_add_co_ci_u32_e32 v10, vcc_lo, v12, v14, vcc_lo
	v_add_co_ci_u32_e32 v11, vcc_lo, 0, v15, vcc_lo
	s_delay_alu instid0(VALU_DEP_2) | instskip(NEXT) | instid1(VALU_DEP_2)
	v_add_co_u32 v9, vcc_lo, v10, v9
	v_add_co_ci_u32_e32 v10, vcc_lo, 0, v11, vcc_lo
	s_delay_alu instid0(VALU_DEP_2) | instskip(NEXT) | instid1(VALU_DEP_2)
	v_add_co_u32 v4, vcc_lo, v4, v9
	v_add_co_ci_u32_e32 v6, vcc_lo, v6, v10, vcc_lo
	s_delay_alu instid0(VALU_DEP_2) | instskip(SKIP_1) | instid1(VALU_DEP_3)
	v_mul_hi_u32 v15, v7, v4
	v_mad_u64_u32 v[11:12], null, v8, v4, 0
	v_mad_u64_u32 v[9:10], null, v7, v6, 0
	;; [unrolled: 1-line block ×3, first 2 shown]
	s_delay_alu instid0(VALU_DEP_2) | instskip(NEXT) | instid1(VALU_DEP_3)
	v_add_co_u32 v4, vcc_lo, v15, v9
	v_add_co_ci_u32_e32 v6, vcc_lo, 0, v10, vcc_lo
	s_delay_alu instid0(VALU_DEP_2) | instskip(NEXT) | instid1(VALU_DEP_2)
	v_add_co_u32 v4, vcc_lo, v4, v11
	v_add_co_ci_u32_e32 v4, vcc_lo, v6, v12, vcc_lo
	v_add_co_ci_u32_e32 v6, vcc_lo, 0, v14, vcc_lo
	s_delay_alu instid0(VALU_DEP_2) | instskip(NEXT) | instid1(VALU_DEP_2)
	v_add_co_u32 v4, vcc_lo, v4, v13
	v_add_co_ci_u32_e32 v6, vcc_lo, 0, v6, vcc_lo
	s_delay_alu instid0(VALU_DEP_2) | instskip(SKIP_1) | instid1(VALU_DEP_3)
	v_mul_lo_u32 v11, s25, v4
	v_mad_u64_u32 v[9:10], null, s24, v4, 0
	v_mul_lo_u32 v12, s24, v6
	s_delay_alu instid0(VALU_DEP_2) | instskip(NEXT) | instid1(VALU_DEP_2)
	v_sub_co_u32 v9, vcc_lo, v7, v9
	v_add3_u32 v10, v10, v12, v11
	s_delay_alu instid0(VALU_DEP_1) | instskip(NEXT) | instid1(VALU_DEP_1)
	v_sub_nc_u32_e32 v11, v8, v10
	v_subrev_co_ci_u32_e64 v11, s2, s25, v11, vcc_lo
	v_add_co_u32 v12, s2, v4, 2
	s_delay_alu instid0(VALU_DEP_1) | instskip(SKIP_3) | instid1(VALU_DEP_3)
	v_add_co_ci_u32_e64 v13, s2, 0, v6, s2
	v_sub_co_u32 v14, s2, v9, s24
	v_sub_co_ci_u32_e32 v10, vcc_lo, v8, v10, vcc_lo
	v_subrev_co_ci_u32_e64 v11, s2, 0, v11, s2
	v_cmp_le_u32_e32 vcc_lo, s24, v14
	s_delay_alu instid0(VALU_DEP_3) | instskip(SKIP_1) | instid1(VALU_DEP_4)
	v_cmp_eq_u32_e64 s2, s25, v10
	v_cndmask_b32_e64 v14, 0, -1, vcc_lo
	v_cmp_le_u32_e32 vcc_lo, s25, v11
	v_cndmask_b32_e64 v15, 0, -1, vcc_lo
	v_cmp_le_u32_e32 vcc_lo, s24, v9
	;; [unrolled: 2-line block ×3, first 2 shown]
	v_cndmask_b32_e64 v16, 0, -1, vcc_lo
	v_cmp_eq_u32_e32 vcc_lo, s25, v11
	s_delay_alu instid0(VALU_DEP_2) | instskip(SKIP_3) | instid1(VALU_DEP_3)
	v_cndmask_b32_e64 v9, v16, v9, s2
	v_cndmask_b32_e32 v11, v15, v14, vcc_lo
	v_add_co_u32 v14, vcc_lo, v4, 1
	v_add_co_ci_u32_e32 v15, vcc_lo, 0, v6, vcc_lo
	v_cmp_ne_u32_e32 vcc_lo, 0, v11
	s_delay_alu instid0(VALU_DEP_2) | instskip(SKIP_1) | instid1(VALU_DEP_2)
	v_dual_cndmask_b32 v10, v15, v13 :: v_dual_cndmask_b32 v11, v14, v12
	v_cmp_ne_u32_e32 vcc_lo, 0, v9
	v_dual_cndmask_b32 v23, v6, v10 :: v_dual_cndmask_b32 v22, v4, v11
.LBB0_4:                                ;   in Loop: Header=BB0_2 Depth=1
	s_and_not1_saveexec_b32 s2, s3
	s_cbranch_execz .LBB0_6
; %bb.5:                                ;   in Loop: Header=BB0_2 Depth=1
	v_cvt_f32_u32_e32 v4, s24
	s_sub_i32 s3, 0, s24
	v_mov_b32_e32 v23, v5
	s_delay_alu instid0(VALU_DEP_2) | instskip(SKIP_2) | instid1(VALU_DEP_1)
	v_rcp_iflag_f32_e32 v4, v4
	s_waitcnt_depctr 0xfff
	v_mul_f32_e32 v4, 0x4f7ffffe, v4
	v_cvt_u32_f32_e32 v4, v4
	s_delay_alu instid0(VALU_DEP_1) | instskip(NEXT) | instid1(VALU_DEP_1)
	v_mul_lo_u32 v6, s3, v4
	v_mul_hi_u32 v6, v4, v6
	s_delay_alu instid0(VALU_DEP_1) | instskip(NEXT) | instid1(VALU_DEP_1)
	v_add_nc_u32_e32 v4, v4, v6
	v_mul_hi_u32 v4, v7, v4
	s_delay_alu instid0(VALU_DEP_1) | instskip(NEXT) | instid1(VALU_DEP_1)
	v_mul_lo_u32 v6, v4, s24
	v_sub_nc_u32_e32 v6, v7, v6
	s_delay_alu instid0(VALU_DEP_1) | instskip(SKIP_1) | instid1(VALU_DEP_2)
	v_subrev_nc_u32_e32 v10, s24, v6
	v_cmp_le_u32_e32 vcc_lo, s24, v6
	v_dual_cndmask_b32 v6, v6, v10 :: v_dual_add_nc_u32 v9, 1, v4
	s_delay_alu instid0(VALU_DEP_1) | instskip(NEXT) | instid1(VALU_DEP_2)
	v_cndmask_b32_e32 v4, v4, v9, vcc_lo
	v_cmp_le_u32_e32 vcc_lo, s24, v6
	s_delay_alu instid0(VALU_DEP_2) | instskip(NEXT) | instid1(VALU_DEP_1)
	v_add_nc_u32_e32 v9, 1, v4
	v_cndmask_b32_e32 v22, v4, v9, vcc_lo
.LBB0_6:                                ;   in Loop: Header=BB0_2 Depth=1
	s_or_b32 exec_lo, exec_lo, s2
	s_delay_alu instid0(VALU_DEP_1) | instskip(NEXT) | instid1(VALU_DEP_2)
	v_mul_lo_u32 v4, v23, s24
	v_mul_lo_u32 v6, v22, s25
	s_load_b64 s[2:3], s[14:15], 0x0
	v_mad_u64_u32 v[9:10], null, v22, s24, 0
	s_load_b64 s[24:25], s[12:13], 0x0
	s_add_u32 s22, s22, 1
	s_addc_u32 s23, s23, 0
	s_add_u32 s12, s12, 8
	s_addc_u32 s13, s13, 0
	s_add_u32 s14, s14, 8
	s_delay_alu instid0(VALU_DEP_1) | instskip(SKIP_3) | instid1(VALU_DEP_2)
	v_add3_u32 v4, v10, v6, v4
	v_sub_co_u32 v10, vcc_lo, v7, v9
	s_addc_u32 s15, s15, 0
	s_add_u32 s20, s20, 8
	v_sub_co_ci_u32_e32 v4, vcc_lo, v8, v4, vcc_lo
	s_addc_u32 s21, s21, 0
	s_waitcnt lgkmcnt(0)
	s_delay_alu instid0(VALU_DEP_1)
	v_mul_lo_u32 v11, s2, v4
	v_mul_lo_u32 v12, s3, v10
	v_mad_u64_u32 v[6:7], null, s2, v10, v[1:2]
	v_mul_lo_u32 v4, s24, v4
	v_mul_lo_u32 v13, s25, v10
	v_mad_u64_u32 v[8:9], null, s24, v10, v[18:19]
	v_cmp_ge_u64_e64 s2, s[22:23], s[10:11]
	v_add3_u32 v2, v12, v7, v11
	s_delay_alu instid0(VALU_DEP_3) | instskip(NEXT) | instid1(VALU_DEP_4)
	v_dual_mov_b32 v1, v6 :: v_dual_mov_b32 v18, v8
	v_add3_u32 v19, v13, v9, v4
	s_delay_alu instid0(VALU_DEP_4)
	s_and_b32 vcc_lo, exec_lo, s2
	s_cbranch_vccnz .LBB0_8
; %bb.7:                                ;   in Loop: Header=BB0_2 Depth=1
	v_dual_mov_b32 v7, v22 :: v_dual_mov_b32 v8, v23
	s_branch .LBB0_2
.LBB0_8:
	s_load_b64 s[0:1], s[0:1], 0x28
	v_mul_hi_u32 v4, 0xaaaaaaab, v3
	s_lshl_b64 s[10:11], s[10:11], 3
                                        ; implicit-def: $vgpr16
	s_delay_alu instid0(SALU_CYCLE_1) | instskip(SKIP_1) | instid1(VALU_DEP_1)
	s_add_u32 s2, s18, s10
	s_addc_u32 s3, s19, s11
	v_lshrrev_b32_e32 v4, 3, v4
	s_delay_alu instid0(VALU_DEP_1) | instskip(SKIP_4) | instid1(VALU_DEP_4)
	v_mul_lo_u32 v5, v4, 12
	v_mul_hi_u32 v4, 0x33333334, v0
	s_waitcnt lgkmcnt(0)
	v_cmp_gt_u64_e32 vcc_lo, s[0:1], v[22:23]
	v_cmp_le_u64_e64 s0, s[0:1], v[22:23]
	v_sub_nc_u32_e32 v3, v3, v5
	s_delay_alu instid0(VALU_DEP_2) | instskip(NEXT) | instid1(SALU_CYCLE_1)
	s_and_saveexec_b32 s1, s0
	s_xor_b32 s0, exec_lo, s1
; %bb.9:
	s_delay_alu instid0(VALU_DEP_4) | instskip(NEXT) | instid1(VALU_DEP_1)
	v_mul_u32_u24_e32 v1, 5, v4
                                        ; implicit-def: $vgpr4
	v_sub_nc_u32_e32 v16, v0, v1
                                        ; implicit-def: $vgpr0
                                        ; implicit-def: $vgpr1_vgpr2
; %bb.10:
	s_or_saveexec_b32 s1, s0
	s_load_b64 s[2:3], s[2:3], 0x0
	v_mul_u32_u24_e32 v3, 0x97, v3
	s_delay_alu instid0(VALU_DEP_1)
	v_lshlrev_b32_e32 v32, 2, v3
	s_xor_b32 exec_lo, exec_lo, s1
	s_cbranch_execz .LBB0_14
; %bb.11:
	s_add_u32 s10, s16, s10
	s_addc_u32 s11, s17, s11
	v_lshlrev_b64 v[1:2], 2, v[1:2]
	s_load_b64 s[10:11], s[10:11], 0x0
	s_waitcnt lgkmcnt(0)
	v_mul_lo_u32 v7, s11, v22
	v_mul_lo_u32 v8, s10, v23
	v_mad_u64_u32 v[5:6], null, s10, v22, 0
	s_delay_alu instid0(VALU_DEP_1) | instskip(SKIP_1) | instid1(VALU_DEP_2)
	v_add3_u32 v6, v6, v8, v7
	v_mul_u32_u24_e32 v7, 5, v4
	v_lshlrev_b64 v[4:5], 2, v[5:6]
	s_delay_alu instid0(VALU_DEP_2) | instskip(NEXT) | instid1(VALU_DEP_1)
	v_sub_nc_u32_e32 v16, v0, v7
	v_lshlrev_b32_e32 v6, 2, v16
	s_delay_alu instid0(VALU_DEP_3) | instskip(NEXT) | instid1(VALU_DEP_1)
	v_add_co_u32 v0, s0, s4, v4
	v_add_co_ci_u32_e64 v4, s0, s5, v5, s0
	s_mov_b32 s4, exec_lo
	s_delay_alu instid0(VALU_DEP_2) | instskip(NEXT) | instid1(VALU_DEP_1)
	v_add_co_u32 v0, s0, v0, v1
	v_add_co_ci_u32_e64 v1, s0, v4, v2, s0
	v_add3_u32 v2, 0, v32, v6
	s_delay_alu instid0(VALU_DEP_3) | instskip(NEXT) | instid1(VALU_DEP_1)
	v_add_co_u32 v4, s0, v0, v6
	v_add_co_ci_u32_e64 v5, s0, 0, v1, s0
	s_clause 0x1d
	global_load_b32 v7, v[4:5], off
	global_load_b32 v8, v[4:5], off offset:20
	global_load_b32 v9, v[4:5], off offset:40
	;; [unrolled: 1-line block ×29, first 2 shown]
	s_waitcnt vmcnt(28)
	ds_store_2addr_b32 v2, v7, v8 offset1:5
	s_waitcnt vmcnt(26)
	ds_store_2addr_b32 v2, v9, v10 offset0:10 offset1:15
	s_waitcnt vmcnt(24)
	ds_store_2addr_b32 v2, v11, v12 offset0:20 offset1:25
	;; [unrolled: 2-line block ×14, first 2 shown]
	v_cmpx_eq_u32_e32 4, v16
	s_cbranch_execz .LBB0_13
; %bb.12:
	global_load_b32 v0, v[0:1], off offset:600
	v_mov_b32_e32 v16, 4
	s_waitcnt vmcnt(0)
	ds_store_b32 v2, v0 offset:584
.LBB0_13:
	s_or_b32 exec_lo, exec_lo, s4
.LBB0_14:
	s_delay_alu instid0(SALU_CYCLE_1)
	s_or_b32 exec_lo, exec_lo, s1
	v_lshl_add_u32 v30, v3, 2, 0
	v_lshlrev_b32_e32 v20, 2, v16
	s_waitcnt lgkmcnt(0)
	s_barrier
	buffer_gl0_inv
	s_mov_b32 s1, exec_lo
	v_add_nc_u32_e32 v31, v30, v20
	v_sub_nc_u32_e32 v4, v30, v20
                                        ; implicit-def: $vgpr0_vgpr1
	ds_load_u16 v5, v31
	ds_load_u16 v6, v4 offset:600
	s_waitcnt lgkmcnt(0)
	v_add_f16_e32 v3, v6, v5
	v_sub_f16_e32 v2, v5, v6
	v_cmpx_ne_u32_e32 0, v16
	s_xor_b32 s1, exec_lo, s1
	s_cbranch_execz .LBB0_16
; %bb.15:
	v_mov_b32_e32 v17, 0
	v_add_f16_e32 v3, v6, v5
	v_sub_f16_e32 v5, v5, v6
	s_delay_alu instid0(VALU_DEP_3) | instskip(NEXT) | instid1(VALU_DEP_1)
	v_lshlrev_b64 v[0:1], 2, v[16:17]
	v_add_co_u32 v0, s0, s8, v0
	s_delay_alu instid0(VALU_DEP_1)
	v_add_co_ci_u32_e64 v1, s0, s9, v1, s0
	global_load_b32 v0, v[0:1], off offset:560
	ds_load_u16 v1, v4 offset:602
	ds_load_u16 v2, v31 offset:2
	s_waitcnt lgkmcnt(0)
	v_add_f16_e32 v6, v1, v2
	v_sub_f16_e32 v1, v2, v1
	s_waitcnt vmcnt(0)
	v_lshrrev_b32_e32 v7, 16, v0
	s_delay_alu instid0(VALU_DEP_1) | instskip(NEXT) | instid1(VALU_DEP_3)
	v_fma_f16 v8, -v5, v7, v3
	v_fma_f16 v9, v6, v7, -v1
	v_fma_f16 v2, v6, v7, v1
	v_fma_f16 v3, v5, v7, v3
	s_delay_alu instid0(VALU_DEP_4) | instskip(NEXT) | instid1(VALU_DEP_4)
	v_fmac_f16_e32 v8, v0, v6
	v_fmac_f16_e32 v9, v5, v0
	s_delay_alu instid0(VALU_DEP_4) | instskip(NEXT) | instid1(VALU_DEP_4)
	v_fmac_f16_e32 v2, v5, v0
	v_fma_f16 v3, -v0, v6, v3
	v_dual_mov_b32 v0, v16 :: v_dual_mov_b32 v1, v17
	s_delay_alu instid0(VALU_DEP_4)
	v_pack_b32_f16 v5, v8, v9
	ds_store_b32 v4, v5 offset:600
.LBB0_16:
	s_and_not1_saveexec_b32 s0, s1
	s_cbranch_execz .LBB0_18
; %bb.17:
	ds_load_b32 v0, v30 offset:300
	s_waitcnt lgkmcnt(0)
	v_pk_mul_f16 v5, 0xc0004000, v0
	v_mov_b32_e32 v0, 0
	v_mov_b32_e32 v1, 0
	ds_store_b32 v30, v5 offset:300
.LBB0_18:
	s_or_b32 exec_lo, exec_lo, s0
	v_lshlrev_b64 v[0:1], 2, v[0:1]
	s_add_u32 s0, s8, 0x230
	s_addc_u32 s1, s9, 0
	v_perm_b32 v2, v2, v3, 0x5040100
	v_add_nc_u32_e32 v35, 25, v16
	v_add_nc_u32_e32 v33, 5, v16
	v_add_co_u32 v0, s0, s0, v0
	s_delay_alu instid0(VALU_DEP_1)
	v_add_co_ci_u32_e64 v1, s0, s1, v1, s0
	s_clause 0x5
	global_load_b32 v5, v[0:1], off offset:20
	global_load_b32 v6, v[0:1], off offset:40
	;; [unrolled: 1-line block ×6, first 2 shown]
	ds_store_b32 v31, v2
	global_load_b32 v2, v[0:1], off offset:140
	ds_load_b32 v3, v31 offset:20
	ds_load_b32 v11, v4 offset:580
	global_load_b32 v14, v[0:1], off offset:160
	v_add_nc_u32_e32 v34, 20, v16
	s_waitcnt lgkmcnt(1)
	v_lshrrev_b32_e32 v12, 16, v3
	s_waitcnt lgkmcnt(0)
	v_lshrrev_b32_e32 v13, 16, v11
	v_add_f16_e32 v15, v3, v11
	v_sub_f16_e32 v3, v3, v11
	s_delay_alu instid0(VALU_DEP_3) | instskip(SKIP_3) | instid1(VALU_DEP_1)
	v_add_f16_e32 v11, v13, v12
	v_sub_f16_e32 v12, v12, v13
	s_waitcnt vmcnt(7)
	v_lshrrev_b32_e32 v17, 16, v5
	v_fma_f16 v13, v3, v17, v15
	s_delay_alu instid0(VALU_DEP_3) | instskip(SKIP_2) | instid1(VALU_DEP_4)
	v_fma_f16 v21, v11, v17, v12
	v_fma_f16 v15, -v3, v17, v15
	v_fma_f16 v12, v11, v17, -v12
	v_fma_f16 v13, -v5, v11, v13
	s_delay_alu instid0(VALU_DEP_4) | instskip(NEXT) | instid1(VALU_DEP_4)
	v_fmac_f16_e32 v21, v3, v5
	v_fmac_f16_e32 v15, v5, v11
	s_delay_alu instid0(VALU_DEP_4) | instskip(NEXT) | instid1(VALU_DEP_3)
	v_fmac_f16_e32 v12, v3, v5
	v_pack_b32_f16 v3, v13, v21
	s_waitcnt vmcnt(6)
	v_lshrrev_b32_e32 v13, 16, v6
	s_delay_alu instid0(VALU_DEP_3)
	v_pack_b32_f16 v5, v15, v12
	v_mov_b32_e32 v21, 0
	ds_store_b32 v31, v3 offset:20
	ds_store_b32 v4, v5 offset:580
	ds_load_b32 v3, v31 offset:40
	ds_load_b32 v5, v4 offset:560
	s_waitcnt lgkmcnt(1)
	v_lshrrev_b32_e32 v11, 16, v3
	s_waitcnt lgkmcnt(0)
	v_lshrrev_b32_e32 v12, 16, v5
	v_add_f16_e32 v15, v3, v5
	v_sub_f16_e32 v3, v3, v5
	s_delay_alu instid0(VALU_DEP_3) | instskip(SKIP_1) | instid1(VALU_DEP_3)
	v_add_f16_e32 v5, v12, v11
	v_sub_f16_e32 v11, v11, v12
	v_fma_f16 v12, v3, v13, v15
	v_fma_f16 v15, -v3, v13, v15
	s_delay_alu instid0(VALU_DEP_3) | instskip(SKIP_1) | instid1(VALU_DEP_4)
	v_fma_f16 v17, v5, v13, v11
	v_fma_f16 v11, v5, v13, -v11
	v_fma_f16 v12, -v6, v5, v12
	s_delay_alu instid0(VALU_DEP_4)
	v_fmac_f16_e32 v15, v6, v5
	s_waitcnt vmcnt(5)
	v_lshrrev_b32_e32 v13, 16, v7
	v_fmac_f16_e32 v17, v3, v6
	v_fmac_f16_e32 v11, v3, v6
	global_load_b32 v6, v[0:1], off offset:180
	v_pack_b32_f16 v3, v12, v17
	v_pack_b32_f16 v5, v15, v11
	ds_store_b32 v31, v3 offset:40
	ds_store_b32 v4, v5 offset:560
	ds_load_b32 v3, v31 offset:60
	ds_load_b32 v5, v4 offset:540
	s_waitcnt lgkmcnt(1)
	v_lshrrev_b32_e32 v11, 16, v3
	s_waitcnt lgkmcnt(0)
	v_lshrrev_b32_e32 v12, 16, v5
	v_add_f16_e32 v15, v3, v5
	v_sub_f16_e32 v3, v3, v5
	s_delay_alu instid0(VALU_DEP_3) | instskip(SKIP_1) | instid1(VALU_DEP_3)
	v_add_f16_e32 v5, v12, v11
	v_sub_f16_e32 v11, v11, v12
	v_fma_f16 v12, v3, v13, v15
	v_fma_f16 v15, -v3, v13, v15
	s_delay_alu instid0(VALU_DEP_3) | instskip(SKIP_1) | instid1(VALU_DEP_4)
	v_fma_f16 v17, v5, v13, v11
	v_fma_f16 v11, v5, v13, -v11
	v_fma_f16 v12, -v7, v5, v12
	s_delay_alu instid0(VALU_DEP_4)
	v_fmac_f16_e32 v15, v7, v5
	s_waitcnt vmcnt(5)
	v_lshrrev_b32_e32 v13, 16, v8
	v_fmac_f16_e32 v17, v3, v7
	v_fmac_f16_e32 v11, v3, v7
	global_load_b32 v7, v[0:1], off offset:200
	v_pack_b32_f16 v3, v12, v17
	v_pack_b32_f16 v5, v15, v11
	;; [unrolled: 28-line block ×5, first 2 shown]
	ds_store_b32 v31, v3 offset:120
	ds_store_b32 v4, v5 offset:480
	ds_load_b32 v3, v31 offset:140
	ds_load_b32 v5, v4 offset:460
	global_load_b32 v0, v[0:1], off offset:280
	s_waitcnt lgkmcnt(1)
	v_lshrrev_b32_e32 v11, 16, v3
	s_waitcnt lgkmcnt(0)
	v_lshrrev_b32_e32 v12, 16, v5
	v_add_f16_e32 v15, v3, v5
	v_sub_f16_e32 v3, v3, v5
	s_delay_alu instid0(VALU_DEP_3) | instskip(SKIP_1) | instid1(VALU_DEP_3)
	v_add_f16_e32 v5, v12, v11
	v_sub_f16_e32 v11, v11, v12
	v_fma_f16 v12, v3, v13, v15
	v_fma_f16 v15, -v3, v13, v15
	s_delay_alu instid0(VALU_DEP_3) | instskip(SKIP_1) | instid1(VALU_DEP_4)
	v_fma_f16 v17, v5, v13, v11
	v_fma_f16 v11, v5, v13, -v11
	v_fma_f16 v12, -v2, v5, v12
	s_delay_alu instid0(VALU_DEP_4) | instskip(NEXT) | instid1(VALU_DEP_4)
	v_fmac_f16_e32 v15, v2, v5
	v_fmac_f16_e32 v17, v3, v2
	s_delay_alu instid0(VALU_DEP_4) | instskip(NEXT) | instid1(VALU_DEP_2)
	v_fmac_f16_e32 v11, v3, v2
	v_pack_b32_f16 v2, v12, v17
	s_delay_alu instid0(VALU_DEP_2)
	v_pack_b32_f16 v3, v15, v11
	ds_store_b32 v31, v2 offset:140
	ds_store_b32 v4, v3 offset:460
	ds_load_b32 v1, v31 offset:160
	ds_load_b32 v2, v4 offset:440
	s_waitcnt vmcnt(6)
	v_lshrrev_b32_e32 v11, 16, v14
	v_add3_u32 v17, 0, v20, v32
	s_waitcnt lgkmcnt(1)
	v_lshrrev_b32_e32 v3, 16, v1
	s_waitcnt lgkmcnt(0)
	v_lshrrev_b32_e32 v5, 16, v2
	v_add_f16_e32 v12, v1, v2
	v_sub_f16_e32 v1, v1, v2
	s_delay_alu instid0(VALU_DEP_3) | instskip(SKIP_1) | instid1(VALU_DEP_3)
	v_add_f16_e32 v2, v5, v3
	v_sub_f16_e32 v3, v3, v5
	v_fma_f16 v5, v1, v11, v12
	v_fma_f16 v12, -v1, v11, v12
	s_delay_alu instid0(VALU_DEP_3) | instskip(SKIP_1) | instid1(VALU_DEP_4)
	v_fma_f16 v13, v2, v11, v3
	v_fma_f16 v3, v2, v11, -v3
	v_fma_f16 v5, -v14, v2, v5
	s_delay_alu instid0(VALU_DEP_4) | instskip(NEXT) | instid1(VALU_DEP_4)
	v_fmac_f16_e32 v12, v14, v2
	v_fmac_f16_e32 v13, v1, v14
	s_delay_alu instid0(VALU_DEP_4) | instskip(NEXT) | instid1(VALU_DEP_2)
	v_fmac_f16_e32 v3, v1, v14
	v_pack_b32_f16 v1, v5, v13
	s_delay_alu instid0(VALU_DEP_2)
	v_pack_b32_f16 v2, v12, v3
	ds_store_b32 v31, v1 offset:160
	ds_store_b32 v4, v2 offset:440
	ds_load_b32 v1, v31 offset:180
	ds_load_b32 v2, v4 offset:420
	s_waitcnt lgkmcnt(1)
	v_lshrrev_b32_e32 v3, 16, v1
	s_waitcnt lgkmcnt(0)
	v_lshrrev_b32_e32 v5, 16, v2
	v_add_f16_e32 v12, v1, v2
	v_sub_f16_e32 v1, v1, v2
	s_delay_alu instid0(VALU_DEP_3) | instskip(SKIP_3) | instid1(VALU_DEP_1)
	v_add_f16_e32 v2, v5, v3
	v_sub_f16_e32 v3, v3, v5
	s_waitcnt vmcnt(5)
	v_lshrrev_b32_e32 v11, 16, v6
	v_fma_f16 v5, v1, v11, v12
	s_delay_alu instid0(VALU_DEP_3) | instskip(SKIP_2) | instid1(VALU_DEP_4)
	v_fma_f16 v13, v2, v11, v3
	v_fma_f16 v12, -v1, v11, v12
	v_fma_f16 v3, v2, v11, -v3
	v_fma_f16 v5, -v6, v2, v5
	s_delay_alu instid0(VALU_DEP_4) | instskip(NEXT) | instid1(VALU_DEP_4)
	v_fmac_f16_e32 v13, v1, v6
	v_fmac_f16_e32 v12, v6, v2
	s_delay_alu instid0(VALU_DEP_4) | instskip(NEXT) | instid1(VALU_DEP_3)
	v_fmac_f16_e32 v3, v1, v6
	v_pack_b32_f16 v1, v5, v13
	s_delay_alu instid0(VALU_DEP_2)
	v_pack_b32_f16 v2, v12, v3
	ds_store_b32 v31, v1 offset:180
	ds_store_b32 v4, v2 offset:420
	ds_load_b32 v1, v31 offset:200
	ds_load_b32 v2, v4 offset:400
	s_waitcnt lgkmcnt(1)
	v_lshrrev_b32_e32 v3, 16, v1
	s_waitcnt lgkmcnt(0)
	v_lshrrev_b32_e32 v5, 16, v2
	v_add_f16_e32 v11, v1, v2
	v_sub_f16_e32 v1, v1, v2
	s_waitcnt vmcnt(4)
	v_lshrrev_b32_e32 v6, 16, v7
	v_add_f16_e32 v2, v5, v3
	v_sub_f16_e32 v3, v3, v5
	s_delay_alu instid0(VALU_DEP_3) | instskip(SKIP_1) | instid1(VALU_DEP_3)
	v_fma_f16 v5, v1, v6, v11
	v_fma_f16 v11, -v1, v6, v11
	v_fma_f16 v12, v2, v6, v3
	v_fma_f16 v3, v2, v6, -v3
	s_delay_alu instid0(VALU_DEP_4) | instskip(NEXT) | instid1(VALU_DEP_4)
	v_fma_f16 v5, -v7, v2, v5
	v_fmac_f16_e32 v11, v7, v2
	s_delay_alu instid0(VALU_DEP_4) | instskip(NEXT) | instid1(VALU_DEP_4)
	v_fmac_f16_e32 v12, v1, v7
	v_fmac_f16_e32 v3, v1, v7
	s_delay_alu instid0(VALU_DEP_2) | instskip(NEXT) | instid1(VALU_DEP_2)
	v_pack_b32_f16 v1, v5, v12
	v_pack_b32_f16 v2, v11, v3
	ds_store_b32 v31, v1 offset:200
	ds_store_b32 v4, v2 offset:400
	ds_load_b32 v1, v31 offset:220
	ds_load_b32 v2, v4 offset:380
	s_waitcnt lgkmcnt(1)
	v_lshrrev_b32_e32 v3, 16, v1
	s_waitcnt lgkmcnt(0)
	v_lshrrev_b32_e32 v5, 16, v2
	v_add_f16_e32 v7, v1, v2
	v_sub_f16_e32 v1, v1, v2
	s_waitcnt vmcnt(3)
	v_lshrrev_b32_e32 v6, 16, v8
	v_add_f16_e32 v2, v5, v3
	v_sub_f16_e32 v3, v3, v5
	s_delay_alu instid0(VALU_DEP_3) | instskip(SKIP_1) | instid1(VALU_DEP_3)
	v_fma_f16 v5, v1, v6, v7
	v_fma_f16 v7, -v1, v6, v7
	v_fma_f16 v11, v2, v6, v3
	v_fma_f16 v3, v2, v6, -v3
	s_delay_alu instid0(VALU_DEP_4) | instskip(NEXT) | instid1(VALU_DEP_4)
	v_fma_f16 v5, -v8, v2, v5
	v_fmac_f16_e32 v7, v8, v2
	s_delay_alu instid0(VALU_DEP_4) | instskip(NEXT) | instid1(VALU_DEP_4)
	v_fmac_f16_e32 v11, v1, v8
	v_fmac_f16_e32 v3, v1, v8
	s_delay_alu instid0(VALU_DEP_2) | instskip(NEXT) | instid1(VALU_DEP_2)
	v_pack_b32_f16 v1, v5, v11
	;; [unrolled: 28-line block ×3, first 2 shown]
	v_pack_b32_f16 v2, v7, v3
	ds_store_b32 v31, v1 offset:240
	ds_store_b32 v4, v2 offset:360
	ds_load_b32 v1, v31 offset:260
	ds_load_b32 v2, v4 offset:340
	s_waitcnt lgkmcnt(1)
	v_lshrrev_b32_e32 v3, 16, v1
	s_waitcnt lgkmcnt(0)
	v_lshrrev_b32_e32 v5, 16, v2
	v_add_f16_e32 v7, v1, v2
	v_sub_f16_e32 v1, v1, v2
	s_waitcnt vmcnt(1)
	v_lshrrev_b32_e32 v6, 16, v10
	v_add_f16_e32 v2, v5, v3
	v_sub_f16_e32 v3, v3, v5
	s_delay_alu instid0(VALU_DEP_3) | instskip(SKIP_1) | instid1(VALU_DEP_3)
	v_fma_f16 v5, v1, v6, v7
	v_fma_f16 v7, -v1, v6, v7
	v_fma_f16 v8, v2, v6, v3
	v_fma_f16 v3, v2, v6, -v3
	s_delay_alu instid0(VALU_DEP_4) | instskip(NEXT) | instid1(VALU_DEP_4)
	v_fma_f16 v5, -v10, v2, v5
	v_fmac_f16_e32 v7, v10, v2
	s_delay_alu instid0(VALU_DEP_4) | instskip(NEXT) | instid1(VALU_DEP_4)
	v_fmac_f16_e32 v8, v1, v10
	v_fmac_f16_e32 v3, v1, v10
	s_waitcnt vmcnt(0)
	v_lshrrev_b32_e32 v14, 16, v0
	v_and_b32_e32 v10, 0xff, v35
	v_pack_b32_f16 v1, v5, v8
	v_pack_b32_f16 v2, v7, v3
	ds_store_b32 v31, v1 offset:260
	ds_store_b32 v4, v2 offset:340
	ds_load_b32 v1, v31 offset:280
	ds_load_b32 v2, v4 offset:320
	v_mul_u32_u24_e32 v3, 10, v16
	v_and_b32_e32 v5, 0xff, v34
	v_lshlrev_b64 v[6:7], 2, v[20:21]
	v_mul_lo_u16 v10, 0xcd, v10
	v_lshlrev_b32_e32 v20, 2, v33
	v_lshlrev_b32_e32 v3, 2, v3
	v_mul_lo_u16 v13, 0xcd, v5
	s_delay_alu instid0(VALU_DEP_3) | instskip(NEXT) | instid1(VALU_DEP_3)
	v_lshlrev_b64 v[8:9], 2, v[20:21]
	v_add3_u32 v5, 0, v3, v32
	s_delay_alu instid0(VALU_DEP_3)
	v_lshrrev_b16 v13, 11, v13
	s_waitcnt lgkmcnt(1)
	v_lshrrev_b32_e32 v11, 16, v1
	s_waitcnt lgkmcnt(0)
	v_lshrrev_b32_e32 v12, 16, v2
	v_add_f16_e32 v15, v1, v2
	v_sub_f16_e32 v1, v1, v2
	s_delay_alu instid0(VALU_DEP_3) | instskip(SKIP_1) | instid1(VALU_DEP_3)
	v_add_f16_e32 v2, v12, v11
	v_sub_f16_e32 v11, v11, v12
	v_fma_f16 v3, v1, v14, v15
	v_fma_f16 v12, -v1, v14, v15
	s_delay_alu instid0(VALU_DEP_3) | instskip(SKIP_1) | instid1(VALU_DEP_4)
	v_fma_f16 v15, v2, v14, v11
	v_fma_f16 v11, v2, v14, -v11
	v_fma_f16 v3, -v0, v2, v3
	s_delay_alu instid0(VALU_DEP_4) | instskip(NEXT) | instid1(VALU_DEP_4)
	v_fmac_f16_e32 v12, v0, v2
	v_fmac_f16_e32 v15, v1, v0
	s_delay_alu instid0(VALU_DEP_4) | instskip(SKIP_1) | instid1(VALU_DEP_1)
	v_fmac_f16_e32 v11, v1, v0
	v_add_co_u32 v0, s0, s8, v6
	v_add_co_ci_u32_e64 v1, s0, s9, v7, s0
	v_lshrrev_b16 v6, 11, v10
	v_mul_lo_u16 v7, v13, 10
	v_pack_b32_f16 v10, v3, v15
	v_pack_b32_f16 v11, v12, v11
	v_add_co_u32 v2, s0, s8, v8
	v_mul_lo_u16 v12, v6, 10
	v_sub_nc_u16 v13, v34, v7
	v_add_co_ci_u32_e64 v3, s0, s9, v9, s0
	ds_store_b32 v31, v10 offset:280
	ds_store_b32 v4, v11 offset:320
	s_waitcnt lgkmcnt(0)
	s_barrier
	buffer_gl0_inv
	s_barrier
	buffer_gl0_inv
	ds_load_2addr_b32 v[6:7], v17 offset0:55 offset1:60
	ds_load_2addr_b32 v[8:9], v17 offset0:85 offset1:90
	;; [unrolled: 1-line block ×3, first 2 shown]
	v_sub_nc_u16 v4, v35, v12
	v_and_b32_e32 v20, 0xff, v13
	ds_load_2addr_b32 v[12:13], v17 offset0:25 offset1:30
	ds_load_2addr_b32 v[14:15], v17 offset0:45 offset1:50
	ds_load_b32 v48, v31
	ds_load_2addr_b32 v[24:25], v17 offset0:75 offset1:80
	ds_load_2addr_b32 v[26:27], v17 offset0:105 offset1:110
	;; [unrolled: 1-line block ×9, first 2 shown]
	ds_load_b32 v49, v17 offset:580
	s_waitcnt lgkmcnt(0)
	s_barrier
	buffer_gl0_inv
	v_lshrrev_b32_e32 v115, 16, v13
	v_lshrrev_b32_e32 v60, 16, v14
	v_pk_add_f16 v56, v48, v13
	v_lshrrev_b32_e32 v62, 16, v24
	v_add_f16_e32 v59, v24, v26
	v_lshrrev_b32_e32 v63, 16, v26
	v_sub_f16_e32 v64, v28, v26
	v_sub_f16_e32 v65, v14, v24
	v_lshrrev_b32_e32 v52, 16, v9
	v_lshrrev_b32_e32 v51, 16, v11
	v_add_f16_e32 v54, v13, v11
	v_sub_f16_e32 v55, v9, v11
	v_sub_f16_e32 v57, v13, v11
	v_add_f16_e32 v66, v14, v28
	v_sub_f16_e32 v67, v26, v28
	v_sub_f16_e32 v68, v24, v14
	v_pk_add_f16 v69, v38, v14
	v_add_f16_e32 v72, v42, v44
	v_add_f16_e32 v79, v40, v46
	;; [unrolled: 1-line block ×4, first 2 shown]
	v_pk_add_f16 v95, v39, v15
	v_add_f16_e32 v98, v43, v45
	v_pk_add_f16 v100, v37, v41
	v_sub_f16_e32 v116, v13, v7
	v_sub_f16_e32 v13, v7, v13
	v_lshrrev_b32_e32 v118, 16, v7
	v_lshrrev_b32_e32 v61, 16, v28
	v_pk_add_f16 v82, v36, v40
	v_add_f16_e32 v50, v7, v9
	v_sub_f16_e32 v53, v11, v9
	v_lshrrev_b32_e32 v70, 16, v38
	v_sub_f16_e32 v71, v24, v26
	v_lshrrev_b32_e32 v73, 16, v40
	v_lshrrev_b32_e32 v74, 16, v46
	;; [unrolled: 1-line block ×4, first 2 shown]
	v_sub_f16_e32 v77, v46, v44
	v_sub_f16_e32 v78, v40, v42
	v_sub_f16_e32 v80, v44, v46
	v_sub_f16_e32 v81, v42, v40
	v_lshrrev_b32_e32 v83, 16, v36
	v_lshrrev_b32_e32 v86, 16, v15
	;; [unrolled: 1-line block ×5, first 2 shown]
	v_sub_f16_e32 v90, v29, v27
	v_sub_f16_e32 v91, v15, v25
	;; [unrolled: 1-line block ×4, first 2 shown]
	v_lshrrev_b32_e32 v96, 16, v39
	v_sub_f16_e32 v97, v25, v27
	v_lshrrev_b32_e32 v99, 16, v43
	v_lshrrev_b32_e32 v101, 16, v45
	v_sub_f16_e32 v102, v47, v45
	v_sub_f16_e32 v103, v41, v43
	;; [unrolled: 1-line block ×4, first 2 shown]
	v_add_f16_e32 v106, v41, v47
	v_sub_f16_e32 v107, v43, v41
	v_lshrrev_b32_e32 v108, 16, v41
	v_pk_add_f16 v110, v12, v6
	v_add_f16_e32 v111, v8, v10
	v_sub_f16_e32 v112, v6, v8
	v_sub_f16_e32 v113, v8, v6
	v_add_f16_e32 v114, v6, v49
	v_lshrrev_b32_e32 v119, 16, v6
	v_lshrrev_b32_e32 v120, 16, v47
	;; [unrolled: 1-line block ×3, first 2 shown]
	v_sub_f16_e32 v123, v49, v10
	v_sub_f16_e32 v124, v10, v49
	v_lshrrev_b32_e32 v125, 16, v10
	v_lshrrev_b32_e32 v126, 16, v49
	v_fma_f16 v59, -0.5, v59, v38
	v_fma_f16 v38, -0.5, v66, v38
	;; [unrolled: 1-line block ×4, first 2 shown]
	v_pk_add_f16 v24, v69, v24
	v_pk_add_f16 v25, v95, v25
	;; [unrolled: 1-line block ×3, first 2 shown]
	v_fma_f16 v69, -0.5, v72, v36
	v_fma_f16 v36, -0.5, v79, v36
	;; [unrolled: 1-line block ×3, first 2 shown]
	v_add_f16_e32 v13, v13, v55
	v_sub_f16_e32 v55, v118, v52
	v_add_f16_e32 v79, v118, v52
	v_sub_f16_e32 v92, v115, v51
	;; [unrolled: 2-line block ×3, first 2 shown]
	v_sub_f16_e32 v51, v52, v51
	v_add_f16_e32 v52, v65, v64
	v_add_f16_e32 v64, v68, v67
	;; [unrolled: 1-line block ×3, first 2 shown]
	v_sub_f16_e32 v58, v7, v9
	v_sub_f16_e32 v84, v42, v44
	v_lshrrev_b32_e32 v127, 16, v48
	v_pk_add_f16 v42, v82, v42
	v_pk_add_f16 v7, v56, v7
	v_sub_f16_e32 v85, v118, v115
	v_sub_f16_e32 v65, v62, v63
	;; [unrolled: 1-line block ×5, first 2 shown]
	v_add_f16_e32 v60, v60, v61
	v_sub_f16_e32 v14, v14, v28
	v_lshrrev_b32_e32 v109, 16, v37
	v_lshrrev_b32_e32 v117, 16, v12
	v_sub_f16_e32 v121, v8, v10
	v_fma_f16 v37, -0.5, v106, v37
	v_fma_f16 v56, -0.5, v111, v12
	;; [unrolled: 1-line block ×3, first 2 shown]
	v_add_f16_e32 v53, v116, v53
	v_sub_f16_e32 v82, v115, v118
	v_sub_f16_e32 v106, v61, v63
	;; [unrolled: 1-line block ×3, first 2 shown]
	v_add_f16_e32 v63, v78, v77
	v_add_f16_e32 v77, v81, v80
	v_sub_f16_e32 v78, v75, v76
	v_add_f16_e32 v80, v75, v76
	v_sub_f16_e32 v81, v73, v75
	v_sub_f16_e32 v75, v75, v73
	;; [unrolled: 1-line block ×3, first 2 shown]
	v_add_f16_e32 v73, v73, v74
	v_sub_f16_e32 v114, v74, v76
	v_sub_f16_e32 v74, v76, v74
	v_add_f16_e32 v76, v91, v90
	v_add_f16_e32 v90, v94, v93
	v_sub_f16_e32 v91, v88, v89
	v_add_f16_e32 v93, v88, v89
	v_sub_f16_e32 v94, v86, v88
	v_sub_f16_e32 v88, v88, v86
	;; [unrolled: 1-line block ×3, first 2 shown]
	v_add_f16_e32 v86, v86, v87
	v_sub_f16_e32 v116, v87, v89
	v_sub_f16_e32 v87, v89, v87
	v_add_f16_e32 v89, v103, v102
	v_add_f16_e32 v102, v107, v104
	v_pk_add_f16 v8, v110, v8
	v_sub_f16_e32 v103, v99, v101
	v_add_f16_e32 v104, v99, v101
	v_sub_f16_e32 v107, v108, v99
	v_sub_f16_e32 v99, v99, v108
	;; [unrolled: 1-line block ×3, first 2 shown]
	v_add_f16_e32 v108, v108, v120
	v_sub_f16_e32 v118, v120, v101
	v_sub_f16_e32 v101, v101, v120
	v_add_f16_e32 v112, v112, v123
	v_add_f16_e32 v113, v113, v124
	v_sub_f16_e32 v120, v122, v125
	v_add_f16_e32 v123, v122, v125
	v_sub_f16_e32 v124, v119, v122
	v_sub_f16_e32 v122, v122, v119
	v_sub_f16_e64 v128, v119, v126
	v_add_f16_e32 v119, v119, v126
	v_fma_f16 v50, -0.5, v50, v48
	v_fma_f16 v48, -0.5, v54, v48
	v_pk_add_f16 v25, v25, v27
	v_pk_add_f16 v27, v43, v45
	v_fma_f16 v45, -0.5, v67, v70
	v_pk_add_f16 v24, v24, v26
	v_pk_add_f16 v26, v42, v44
	;; [unrolled: 1-line block ×3, first 2 shown]
	v_fma_f16 v42, -0.5, v79, v127
	v_add_f16_e32 v43, v85, v51
	v_fmac_f16_e32 v70, -0.5, v60
	v_fmamk_f16 v85, v100, 0xbb9c, v59
	v_sub_f16_e32 v15, v15, v29
	v_sub_f16_e32 v6, v6, v49
	v_add_f16_e32 v9, v82, v98
	v_add_f16_e32 v51, v62, v61
	;; [unrolled: 1-line block ×4, first 2 shown]
	v_fma_f16 v67, -0.5, v93, v96
	v_fmac_f16_e32 v96, -0.5, v86
	v_add_f16_e32 v74, v99, v101
	v_fma_f16 v79, -0.5, v123, v117
	v_fmac_f16_e32 v117, -0.5, v119
	v_fmamk_f16 v81, v92, 0xbb9c, v50
	v_fmac_f16_e32 v50, 0x3b9c, v92
	v_fmamk_f16 v82, v55, 0x3b9c, v48
	v_fmac_f16_e32 v48, 0xbb9c, v55
	v_fmac_f16_e32 v59, 0x3b9c, v100
	v_fmamk_f16 v86, v65, 0x3b9c, v38
	v_fmac_f16_e32 v38, 0xbb9c, v65
	v_fmamk_f16 v93, v115, 0xbb9c, v66
	v_fma_f16 v99, 0xbb9c, v128, v56
	v_pk_add_f16 v25, v25, v29
	v_fmamk_f16 v29, v14, 0x3b9c, v45
	v_sub_f16_e32 v40, v40, v46
	v_pk_add_f16 v26, v26, v46
	v_pk_add_f16 v7, v7, v11
	v_fmac_f16_e32 v85, 0xb8b4, v65
	v_fmamk_f16 v11, v57, 0x3b9c, v42
	v_fmac_f16_e32 v42, 0xbb9c, v57
	v_fmamk_f16 v46, v71, 0xbb9c, v70
	v_fmac_f16_e32 v70, 0x3b9c, v71
	v_fmac_f16_e32 v127, -0.5, v95
	v_fmac_f16_e32 v45, 0xbb9c, v14
	v_sub_f16_e32 v41, v41, v47
	v_sub_f16_e64 v129, v126, v125
	v_sub_f16_e32 v125, v125, v126
	v_add_f16_e32 v44, v68, v106
	v_fma_f16 v60, -0.5, v80, v83
	v_fmac_f16_e32 v83, -0.5, v73
	v_pk_add_f16 v8, v8, v10
	v_add_f16_e32 v10, v88, v87
	v_fma_f16 v73, -0.5, v104, v109
	v_fmamk_f16 v87, v111, 0xbb9c, v69
	v_fmac_f16_e32 v69, 0x3b9c, v111
	v_fmac_f16_e32 v81, 0xb8b4, v55
	;; [unrolled: 1-line block ×10, first 2 shown]
	v_fmamk_f16 v55, v15, 0x3b9c, v67
	v_fmac_f16_e32 v67, 0xbb9c, v15
	v_fmamk_f16 v65, v97, 0xbb9c, v96
	v_fmac_f16_e32 v96, 0x3b9c, v97
	;; [unrolled: 2-line block ×4, first 2 shown]
	v_fmac_f16_e32 v29, 0x38b4, v71
	v_fmac_f16_e32 v109, -0.5, v108
	v_fmac_f16_e32 v66, 0x3b9c, v115
	v_fmac_f16_e32 v11, 0x38b4, v58
	;; [unrolled: 1-line block ×6, first 2 shown]
	v_pk_add_f16 v24, v24, v28
	v_fmamk_f16 v28, v58, 0xbb9c, v127
	v_fmac_f16_e32 v127, 0x3b9c, v58
	v_fmac_f16_e32 v45, 0xb8b4, v71
	v_add_f16_e32 v62, v94, v116
	v_add_f16_e64 v75, v124, v129
	v_add_f16_e32 v80, v122, v125
	v_fmamk_f16 v88, v78, 0x3b9c, v36
	v_fmac_f16_e32 v36, 0xbb9c, v78
	v_fmamk_f16 v94, v91, 0x3b9c, v39
	v_fmac_f16_e32 v39, 0xbb9c, v91
	v_fmac_f16_e64 v56, 0x3b9c, v128
	v_fmamk_f16 v101, v120, 0x3b9c, v12
	v_fmac_f16_e32 v12, 0xbb9c, v120
	v_pk_add_f16 v27, v27, v47
	v_fmac_f16_e32 v87, 0xb8b4, v78
	v_fmac_f16_e32 v69, 0x38b4, v78
	v_pk_add_f16 v8, v8, v49
	v_fmamk_f16 v47, v40, 0x3b9c, v60
	v_fmac_f16_e32 v60, 0xbb9c, v40
	v_fmamk_f16 v49, v84, 0xbb9c, v83
	v_fmac_f16_e32 v83, 0x3b9c, v84
	;; [unrolled: 2-line block ×3, first 2 shown]
	v_fmac_f16_e32 v55, 0x38b4, v97
	v_fmac_f16_e32 v67, 0xb8b4, v97
	;; [unrolled: 1-line block ×11, first 2 shown]
	v_fmamk_f16 v91, v105, 0xbb9c, v109
	v_fmac_f16_e32 v109, 0x3b9c, v105
	v_fmac_f16_e32 v11, 0x34f2, v9
	;; [unrolled: 1-line block ×5, first 2 shown]
	v_mul_f16_e32 v9, 0x38b4, v85
	v_fmac_f16_e32 v28, 0x38b4, v57
	v_fmac_f16_e32 v127, 0xb8b4, v57
	;; [unrolled: 1-line block ×3, first 2 shown]
	v_add_f16_e32 v68, v107, v118
	v_fmamk_f16 v95, v110, 0xbb9c, v72
	v_fmac_f16_e32 v72, 0x3b9c, v110
	v_fmamk_f16 v98, v103, 0x3b9c, v37
	v_fmac_f16_e32 v37, 0xbb9c, v103
	v_fmac_f16_e32 v94, 0xb8b4, v115
	;; [unrolled: 1-line block ×4, first 2 shown]
	v_fmac_f16_e64 v101, 0xb8b4, v128
	v_fmac_f16_e64 v12, 0x38b4, v128
	v_fmac_f16_e32 v73, 0xbb9c, v41
	v_fmac_f16_e32 v82, 0x34f2, v13
	;; [unrolled: 1-line block ×3, first 2 shown]
	v_pk_add_f16 v13, v7, v24
	v_pk_add_f16 v7, v7, v24 neg_lo:[0,1] neg_hi:[0,1]
	v_fmac_f16_e32 v47, 0x38b4, v84
	v_fmac_f16_e32 v60, 0xb8b4, v84
	;; [unrolled: 1-line block ×4, first 2 shown]
	v_pk_add_f16 v14, v26, v25
	v_pk_add_f16 v15, v26, v25 neg_lo:[0,1] neg_hi:[0,1]
	v_fmac_f16_e32 v78, 0x38b4, v105
	v_fmac_f16_e32 v55, 0x34f2, v62
	;; [unrolled: 1-line block ×5, first 2 shown]
	v_mul_f16_e32 v10, 0x38b4, v93
	v_fmac_f16_e32 v92, 0x34f2, v75
	v_fmac_f16_e32 v79, 0x34f2, v75
	;; [unrolled: 1-line block ×4, first 2 shown]
	v_mul_f16_e32 v24, 0x38b4, v99
	v_mul_f16_e32 v25, 0xb8b4, v29
	v_fmac_f16_e32 v86, 0x34f2, v64
	v_fmac_f16_e32 v38, 0x34f2, v64
	;; [unrolled: 1-line block ×4, first 2 shown]
	v_pk_add_f16 v6, v27, v8
	v_pk_add_f16 v8, v27, v8 neg_lo:[0,1] neg_hi:[0,1]
	v_mul_f16_e32 v26, 0xbb9c, v46
	v_mul_f16_e32 v27, 0xbb9c, v70
	v_fmac_f16_e32 v9, 0x3a79, v29
	v_mul_f16_e32 v29, 0x34f2, v46
	v_mul_f16_e32 v41, 0xb4f2, v70
	v_fmac_f16_e32 v59, 0x34f2, v52
	v_fmac_f16_e32 v28, 0x34f2, v43
	;; [unrolled: 1-line block ×3, first 2 shown]
	v_mul_f16_e32 v40, 0xb8b4, v45
	v_mul_f16_e32 v43, 0xba79, v45
	v_fmac_f16_e32 v88, 0xb8b4, v111
	v_fmac_f16_e32 v36, 0x38b4, v111
	;; [unrolled: 1-line block ×22, first 2 shown]
	v_mul_f16_e32 v44, 0xb8b4, v55
	v_mul_f16_e32 v45, 0xbb9c, v65
	;; [unrolled: 1-line block ×4, first 2 shown]
	v_fmac_f16_e32 v10, 0x3a79, v55
	v_mul_f16_e32 v52, 0x34f2, v65
	v_mul_f16_e32 v53, 0xb4f2, v96
	;; [unrolled: 1-line block ×7, first 2 shown]
	v_fmac_f16_e32 v24, 0x3a79, v92
	v_mul_f16_e32 v62, 0x34f2, v100
	v_mul_f16_e32 v63, 0xb4f2, v117
	;; [unrolled: 1-line block ×3, first 2 shown]
	v_fmac_f16_e32 v25, 0x3a79, v85
	v_fmac_f16_e32 v26, 0x34f2, v86
	;; [unrolled: 1-line block ×16, first 2 shown]
	v_add_f16_e32 v65, v11, v9
	v_fmac_f16_e32 v44, 0x3a79, v93
	v_fmac_f16_e32 v45, 0x34f2, v94
	;; [unrolled: 1-line block ×11, first 2 shown]
	v_add_f16_e32 v38, v78, v24
	v_fmac_f16_e32 v62, 0x3b9c, v101
	v_fmac_f16_e32 v63, 0x3b9c, v12
	;; [unrolled: 1-line block ×3, first 2 shown]
	v_sub_f16_e32 v12, v78, v24
	v_add_f16_e32 v24, v81, v25
	v_sub_f16_e32 v9, v11, v9
	v_add_f16_e32 v11, v47, v10
	v_sub_f16_e32 v10, v47, v10
	v_add_f16_e32 v39, v82, v26
	v_add_f16_e32 v47, v48, v27
	v_add_f16_e32 v59, v28, v29
	;; [unrolled: 1-line block ×5, first 2 shown]
	v_sub_f16_e32 v25, v81, v25
	v_sub_f16_e32 v26, v82, v26
	;; [unrolled: 1-line block ×7, first 2 shown]
	v_add_f16_e32 v42, v87, v44
	v_add_f16_e32 v43, v88, v45
	;; [unrolled: 1-line block ×7, first 2 shown]
	v_sub_f16_e32 v44, v87, v44
	v_sub_f16_e32 v45, v88, v45
	;; [unrolled: 1-line block ×7, first 2 shown]
	v_add_f16_e32 v53, v95, v55
	v_add_f16_e32 v54, v98, v57
	;; [unrolled: 1-line block ×7, first 2 shown]
	v_sub_f16_e32 v55, v95, v55
	v_sub_f16_e32 v57, v98, v57
	;; [unrolled: 1-line block ×7, first 2 shown]
	v_pack_b32_f16 v24, v24, v65
	v_pack_b32_f16 v47, v47, v66
	;; [unrolled: 1-line block ×24, first 2 shown]
	ds_store_2addr_b32 v5, v13, v24 offset1:1
	ds_store_2addr_b32 v5, v39, v47 offset0:2 offset1:3
	ds_store_2addr_b32 v5, v56, v7 offset0:4 offset1:5
	;; [unrolled: 1-line block ×14, first 2 shown]
	v_and_b32_e32 v26, 0xff, v4
	s_waitcnt lgkmcnt(0)
	s_barrier
	buffer_gl0_inv
	s_clause 0x1
	global_load_b128 v[12:15], v[0:1], off
	global_load_b128 v[8:11], v[2:3], off
	v_lshlrev_b32_e32 v0, 4, v20
	v_lshlrev_b32_e32 v1, 4, v26
	s_clause 0x1
	global_load_b128 v[4:7], v0, s[8:9]
	global_load_b128 v[0:3], v1, s[8:9]
	ds_load_b32 v37, v31
	ds_load_2addr_b32 v[24:25], v17 offset0:25 offset1:30
	ds_load_2addr_b32 v[44:45], v17 offset0:55 offset1:60
	;; [unrolled: 1-line block ×9, first 2 shown]
	v_lshlrev_b32_e32 v36, 2, v20
	v_lshlrev_b32_e32 v20, 2, v26
	ds_load_2addr_b32 v[58:59], v17 offset0:45 offset1:50
	ds_load_2addr_b32 v[60:61], v17 offset0:75 offset1:80
	;; [unrolled: 1-line block ×4, first 2 shown]
	ds_load_b32 v66, v17 offset:580
	ds_load_2addr_b32 v[26:27], v17 offset0:15 offset1:20
	s_waitcnt vmcnt(0) lgkmcnt(0)
	s_barrier
	buffer_gl0_inv
	v_lshrrev_b32_e32 v40, 16, v37
	v_lshrrev_b32_e32 v67, 16, v25
	;; [unrolled: 1-line block ×46, first 2 shown]
	v_mul_f16_e32 v107, v67, v91
	v_mul_f16_e32 v108, v25, v91
	;; [unrolled: 1-line block ×25, first 2 shown]
	v_mul_f16_e64 v128, v60, v96
	v_mul_f16_e64 v129, v62, v97
	;; [unrolled: 1-line block ×4, first 2 shown]
	v_mul_f16_e32 v99, v59, v99
	v_mul_f16_e64 v132, v84, v100
	v_mul_f16_e32 v100, v61, v100
	v_mul_f16_e64 v133, v85, v101
	;; [unrolled: 2-line block ×4, first 2 shown]
	v_mul_f16_e64 v136, v88, v104
	v_mul_f16_e64 v137, v89, v105
	;; [unrolled: 1-line block ×3, first 2 shown]
	v_mul_f16_e32 v95, v79, v95
	v_mul_f16_e32 v96, v80, v96
	;; [unrolled: 1-line block ×8, first 2 shown]
	v_fma_f16 v67, v67, v12, -v108
	v_fma_f16 v68, v68, v13, -v110
	;; [unrolled: 1-line block ×8, first 2 shown]
	v_fmac_f16_e32 v107, v25, v12
	v_fmac_f16_e32 v109, v45, v13
	v_fmac_f16_e32 v111, v47, v14
	v_fmac_f16_e32 v118, v49, v15
	v_fmac_f16_e32 v91, v51, v12
	v_fmac_f16_e32 v92, v53, v13
	v_fmac_f16_e32 v93, v55, v14
	v_fmac_f16_e32 v94, v57, v15
	v_fmac_f16_e32 v119, v50, v8
	v_fmac_f16_e32 v120, v52, v9
	v_fmac_f16_e32 v122, v54, v10
	v_fmac_f16_e32 v124, v56, v11
	v_fma_f16 v12, v71, v8, -v121
	v_fma_f16 v13, v72, v9, -v123
	;; [unrolled: 1-line block ×8, first 2 shown]
	v_fmac_f16_e64 v131, v59, v4
	v_fmac_f16_e64 v132, v61, v5
	;; [unrolled: 1-line block ×3, first 2 shown]
	v_fma_f16 v4, v83, v4, -v99
	v_fma_f16 v5, v84, v5, -v100
	;; [unrolled: 1-line block ×3, first 2 shown]
	v_fmac_f16_e64 v134, v65, v7
	v_fma_f16 v7, v86, v7, -v102
	v_fmac_f16_e64 v135, v44, v0
	v_fmac_f16_e64 v136, v46, v1
	v_fmac_f16_e64 v137, v48, v2
	v_fmac_f16_e64 v138, v66, v3
	v_fmac_f16_e32 v95, v58, v8
	v_fmac_f16_e32 v96, v60, v9
	;; [unrolled: 1-line block ×4, first 2 shown]
	v_fma_f16 v0, v87, v0, -v103
	v_fma_f16 v1, v88, v1, -v104
	;; [unrolled: 1-line block ×4, first 2 shown]
	v_sub_f16_e32 v10, v107, v109
	v_sub_f16_e32 v11, v118, v111
	;; [unrolled: 1-line block ×4, first 2 shown]
	v_add_f16_e32 v51, v68, v69
	v_sub_f16_e32 v52, v67, v68
	v_sub_f16_e32 v53, v70, v69
	v_add_f16_e32 v54, v67, v70
	v_sub_f16_e32 v55, v68, v67
	v_sub_f16_e32 v56, v69, v70
	v_sub_f16_e32 v57, v119, v120
	v_sub_f16_e32 v58, v124, v122
	v_sub_f16_e32 v59, v120, v119
	v_sub_f16_e32 v60, v122, v124
	v_sub_f16_e32 v63, v12, v13
	v_sub_f16_e32 v64, v15, v14
	v_sub_f16_e32 v81, v92, v91
	v_sub_f16_e32 v82, v93, v94
	v_sub_f16_e32 v84, v75, v76
	v_sub_f16_e32 v85, v78, v77
	v_sub_f16_e32 v102, v25, v45
	v_sub_f16_e32 v103, v49, v47
	v_sub_f16_e64 v129, v5, v4
	v_sub_f16_e64 v130, v6, v7
	v_add_f16_e32 v9, v109, v111
	v_add_f16_e32 v44, v107, v118
	;; [unrolled: 1-line block ×4, first 2 shown]
	v_sub_f16_e32 v66, v13, v12
	v_sub_f16_e32 v71, v14, v15
	v_add_f16_e32 v104, v45, v47
	v_add_f16_e32 v105, v25, v49
	v_sub_f16_e64 v139, v135, v136
	v_sub_f16_e64 v140, v138, v137
	v_add_f16_e32 v8, v37, v107
	v_add_f16_e32 v50, v40, v67
	v_add_f16_e32 v61, v41, v12
	v_add_f16_e32 v72, v29, v91
	v_sub_f16_e32 v87, v76, v75
	v_sub_f16_e32 v88, v77, v78
	v_add_f16_e32 v89, v42, v75
	v_add_f16_e32 v126, v5, v6
	;; [unrolled: 1-line block ×3, first 2 shown]
	v_add_f16_e64 v141, v136, v137
	v_add_f16_e32 v10, v10, v11
	v_add_f16_e64 v11, v135, v138
	v_add_f16_e32 v46, v46, v48
	v_sub_f16_e64 v48, v136, v135
	v_add_f16_e32 v52, v52, v53
	v_sub_f16_e64 v53, v137, v138
	v_fma_f16 v51, -0.5, v51, v40
	v_fmac_f16_e32 v40, -0.5, v54
	v_sub_f16_e32 v54, v0, v1
	v_add_f16_e32 v55, v55, v56
	v_sub_f16_e32 v56, v3, v2
	v_add_f16_e32 v57, v57, v58
	v_add_f16_e32 v58, v1, v2
	;; [unrolled: 1-line block ×12, first 2 shown]
	v_add_f16_e64 v129, v129, v130
	v_add_f16_e64 v130, v119, v124
	v_add_f16_e32 v73, v92, v93
	v_sub_f16_e32 v74, v91, v92
	v_sub_f16_e32 v79, v94, v93
	v_add_f16_e32 v80, v91, v94
	v_add_f16_e32 v83, v76, v77
	;; [unrolled: 1-line block ×4, first 2 shown]
	v_sub_f16_e64 v112, v131, v132
	v_sub_f16_e64 v113, v134, v133
	v_add_f16_e64 v116, v27, v131
	v_sub_f16_e64 v117, v132, v131
	v_sub_f16_e64 v121, v133, v134
	v_add_f16_e64 v128, v39, v4
	v_fma_f16 v9, -0.5, v9, v37
	v_fmac_f16_e32 v37, -0.5, v44
	v_add_f16_e64 v44, v24, v135
	v_fma_f16 v62, -0.5, v62, v41
	v_fmac_f16_e32 v41, -0.5, v65
	v_sub_f16_e32 v65, v1, v0
	v_add_f16_e32 v66, v66, v71
	v_sub_f16_e32 v71, v2, v3
	v_fma_f16 v104, -0.5, v104, v43
	v_fmac_f16_e32 v43, -0.5, v105
	v_add_f16_e32 v105, v96, v97
	v_add_f16_e64 v139, v139, v140
	v_add_f16_e64 v140, v95, v98
	v_sub_f16_e32 v90, v95, v96
	v_sub_f16_e32 v99, v98, v97
	;; [unrolled: 1-line block ×6, first 2 shown]
	v_add_f16_e32 v87, v87, v88
	v_sub_f16_e32 v88, v13, v14
	v_fma_f16 v126, -0.5, v126, v39
	v_fmac_f16_e32 v39, -0.5, v127
	v_sub_f16_e32 v127, v1, v2
	v_sub_f16_e32 v67, v67, v70
	;; [unrolled: 1-line block ×5, first 2 shown]
	v_fma_f16 v141, -0.5, v141, v24
	v_fmac_f16_e32 v24, -0.5, v11
	v_add_f16_e32 v11, v48, v53
	v_add_f16_e32 v48, v54, v56
	v_fma_f16 v53, -0.5, v58, v38
	v_fmac_f16_e32 v38, -0.5, v60
	v_add_f16_e32 v8, v8, v109
	v_add_f16_e32 v50, v50, v68
	;; [unrolled: 1-line block ×8, first 2 shown]
	v_fma_f16 v64, -0.5, v85, v28
	v_fma_f16 v28, -0.5, v130, v28
	v_sub_f16_e32 v123, v4, v5
	v_add_f16_e32 v74, v74, v79
	v_sub_f16_e32 v79, v109, v111
	v_fma_f16 v73, -0.5, v73, v29
	v_fmac_f16_e32 v29, -0.5, v80
	v_sub_f16_e32 v80, v68, v69
	v_fma_f16 v83, -0.5, v83, v42
	v_fmac_f16_e32 v42, -0.5, v86
	v_sub_f16_e32 v86, v120, v122
	v_add_f16_e32 v112, v112, v113
	v_sub_f16_e32 v113, v45, v47
	v_add_f16_e32 v117, v117, v121
	;; [unrolled: 2-line block ×3, first 2 shown]
	v_add_f16_e32 v45, v106, v45
	v_add_f16_e64 v65, v116, v132
	v_add_f16_e64 v5, v128, v5
	;; [unrolled: 1-line block ×5, first 2 shown]
	v_sub_f16_e32 v91, v91, v94
	v_sub_f16_e32 v75, v75, v78
	;; [unrolled: 1-line block ×4, first 2 shown]
	v_fma_f16 v68, -0.5, v105, v26
	v_fma_f16 v26, -0.5, v140, v26
	v_add_f16_e32 v90, v90, v99
	v_sub_f16_e32 v99, v92, v93
	v_add_f16_e32 v100, v100, v101
	v_sub_f16_e32 v101, v76, v77
	;; [unrolled: 2-line block ×3, first 2 shown]
	v_add_f16_e32 v8, v8, v111
	v_add_f16_e32 v50, v50, v69
	;; [unrolled: 1-line block ×8, first 2 shown]
	v_fmamk_f16 v2, v67, 0xbb9c, v9
	v_fmamk_f16 v61, v107, 0x3b9c, v51
	;; [unrolled: 1-line block ×4, first 2 shown]
	v_fmac_f16_e32 v28, 0xbb9c, v88
	v_fmamk_f16 v72, v119, 0x3b9c, v62
	v_sub_f16_e32 v125, v7, v6
	v_add_f16_e32 v45, v45, v47
	v_add_f16_e64 v47, v65, v133
	v_add_f16_e32 v5, v5, v6
	v_add_f16_e64 v6, v44, v137
	v_fmamk_f16 v44, v80, 0x3b9c, v37
	v_fmamk_f16 v65, v79, 0xbb9c, v40
	;; [unrolled: 1-line block ×3, first 2 shown]
	v_fmac_f16_e32 v37, 0xbb9c, v80
	v_fmac_f16_e32 v40, 0x3b9c, v79
	v_fmac_f16_e32 v41, 0x3b9c, v86
	v_fma_f16 v114, -0.5, v114, v27
	v_sub_f16_e64 v131, v131, v134
	v_sub_f16_e32 v4, v4, v7
	v_fmac_f16_e32 v9, 0x3b9c, v67
	v_fmac_f16_e32 v51, 0xbb9c, v107
	;; [unrolled: 1-line block ×4, first 2 shown]
	v_fmac_f16_e32 v27, -0.5, v115
	v_sub_f16_e64 v115, v132, v133
	v_fmamk_f16 v77, v75, 0xbb9c, v73
	v_fmamk_f16 v85, v91, 0x3b9c, v83
	v_fmamk_f16 v92, v25, 0xbb9c, v68
	v_fmamk_f16 v93, v113, 0x3b9c, v26
	v_fmac_f16_e32 v26, 0xbb9c, v113
	v_fmamk_f16 v96, v95, 0x3b9c, v104
	v_sub_f16_e32 v0, v0, v3
	v_fmamk_f16 v82, v101, 0x3b9c, v29
	v_fmamk_f16 v89, v99, 0xbb9c, v42
	;; [unrolled: 1-line block ×4, first 2 shown]
	v_fmac_f16_e32 v24, 0xbb9c, v127
	v_add_f16_e32 v8, v8, v118
	v_fmac_f16_e32 v2, 0xb8b4, v80
	v_add_f16_e32 v50, v50, v70
	;; [unrolled: 2-line block ×3, first 2 shown]
	v_fmac_f16_e32 v69, 0xb8b4, v88
	v_fmac_f16_e32 v71, 0xb8b4, v12
	;; [unrolled: 1-line block ×3, first 2 shown]
	v_add_f16_e32 v12, v13, v15
	v_fmac_f16_e32 v72, 0x38b4, v86
	v_sub_f16_e64 v135, v135, v138
	v_fmac_f16_e32 v29, 0xbb9c, v101
	v_fmac_f16_e32 v42, 0x3b9c, v99
	;; [unrolled: 1-line block ×6, first 2 shown]
	v_add_f16_e32 v123, v123, v125
	v_sub_f16_e64 v125, v136, v137
	v_fmac_f16_e32 v73, 0x3b9c, v75
	v_fmac_f16_e32 v83, 0xbb9c, v91
	;; [unrolled: 1-line block ×7, first 2 shown]
	v_fmamk_f16 v103, v4, 0xbb9c, v114
	v_fma_f16 v106, 0x3b9c, v131, v126
	v_fmac_f16_e32 v9, 0x38b4, v80
	v_fmac_f16_e32 v51, 0xb8b4, v79
	;; [unrolled: 1-line block ×4, first 2 shown]
	v_fmamk_f16 v105, v121, 0x3b9c, v27
	v_fmac_f16_e32 v27, 0xbb9c, v121
	v_fmamk_f16 v109, v115, 0xbb9c, v39
	v_fmac_f16_e32 v39, 0x3b9c, v115
	v_add_f16_e32 v13, v14, v94
	v_fmac_f16_e32 v77, 0xb8b4, v101
	v_add_f16_e32 v14, v58, v78
	v_fmac_f16_e32 v85, 0x38b4, v99
	v_add_f16_e32 v15, v60, v98
	v_fmac_f16_e32 v92, 0xb8b4, v113
	v_fmac_f16_e32 v93, 0xb8b4, v25
	;; [unrolled: 1-line block ×3, first 2 shown]
	v_add_f16_e32 v25, v45, v49
	v_fmac_f16_e32 v96, 0x38b4, v110
	v_fmac_f16_e32 v114, 0x3b9c, v4
	v_fmac_f16_e64 v126, 0xbb9c, v131
	v_fma_f16 v111, 0xbb9c, v0, v141
	v_fmac_f16_e64 v141, 0x3b9c, v0
	v_fmac_f16_e32 v82, 0xb8b4, v75
	v_fmac_f16_e32 v89, 0x38b4, v91
	;; [unrolled: 1-line block ×5, first 2 shown]
	v_add_f16_e32 v0, v1, v3
	v_fmac_f16_e32 v2, 0x34f2, v10
	v_fmac_f16_e32 v61, 0x34f2, v52
	;; [unrolled: 1-line block ×4, first 2 shown]
	v_pack_b32_f16 v1, v8, v50
	v_pack_b32_f16 v3, v56, v12
	v_fma_f16 v120, 0x3b9c, v135, v53
	v_fmac_f16_e32 v29, 0x38b4, v75
	v_fmac_f16_e32 v42, 0xb8b4, v91
	;; [unrolled: 1-line block ×7, first 2 shown]
	v_fmamk_f16 v122, v125, 0xbb9c, v38
	v_fmac_f16_e32 v38, 0x3b9c, v125
	v_fmac_f16_e32 v73, 0x38b4, v101
	;; [unrolled: 1-line block ×9, first 2 shown]
	v_fmac_f16_e64 v53, 0xbb9c, v135
	v_fmac_f16_e32 v103, 0xb8b4, v121
	v_fmac_f16_e32 v106, 0x38b4, v115
	;; [unrolled: 1-line block ×8, first 2 shown]
	v_add_f16_e32 v4, v5, v7
	v_fmac_f16_e64 v109, 0x38b4, v131
	v_fmac_f16_e64 v39, 0xb8b4, v131
	v_add_f16_e64 v5, v6, v138
	v_fmac_f16_e32 v77, 0x34f2, v74
	v_fmac_f16_e32 v85, 0x34f2, v84
	;; [unrolled: 1-line block ×4, first 2 shown]
	v_pack_b32_f16 v6, v13, v14
	v_pack_b32_f16 v7, v15, v25
	v_fmac_f16_e32 v114, 0x38b4, v121
	v_fmac_f16_e32 v126, 0xb8b4, v115
	;; [unrolled: 1-line block ×6, first 2 shown]
	v_pack_b32_f16 v2, v2, v61
	ds_store_2addr_b32 v17, v1, v3 offset1:5
	v_pack_b32_f16 v1, v69, v72
	v_fmac_f16_e32 v111, 0xb8b4, v127
	v_fmac_f16_e32 v120, 0x38b4, v125
	v_fmac_f16_e32 v29, 0x34f2, v81
	v_fmac_f16_e32 v42, 0x34f2, v87
	v_fmac_f16_e32 v26, 0x34f2, v100
	v_fmac_f16_e32 v43, 0x34f2, v108
	v_pack_b32_f16 v8, v44, v65
	v_pack_b32_f16 v3, v71, v76
	v_fmac_f16_e64 v122, 0x38b4, v135
	v_fmac_f16_e64 v38, 0xb8b4, v135
	v_fmac_f16_e32 v73, 0x34f2, v74
	v_fmac_f16_e32 v83, 0x34f2, v84
	;; [unrolled: 1-line block ×6, first 2 shown]
	v_pack_b32_f16 v10, v37, v40
	v_pack_b32_f16 v11, v28, v41
	v_add_f16_e64 v45, v47, v134
	v_fmac_f16_e64 v141, 0x38b4, v127
	v_fmac_f16_e32 v53, 0xb8b4, v125
	v_fmac_f16_e32 v103, 0x34f2, v112
	;; [unrolled: 1-line block ×3, first 2 shown]
	v_pack_b32_f16 v9, v9, v51
	v_pack_b32_f16 v12, v64, v62
	v_fmac_f16_e32 v105, 0x34f2, v117
	v_fmac_f16_e32 v27, 0x34f2, v117
	v_fmac_f16_e64 v109, 0x34f2, v129
	v_fmac_f16_e64 v39, 0x34f2, v129
	v_pack_b32_f16 v13, v77, v85
	ds_store_2addr_b32 v17, v6, v7 offset0:50 offset1:55
	v_pack_b32_f16 v6, v92, v96
	v_fmac_f16_e32 v114, 0x34f2, v112
	v_fmac_f16_e32 v126, 0x34f2, v123
	v_pack_b32_f16 v14, v82, v89
	ds_store_2addr_b32 v17, v2, v1 offset0:10 offset1:15
	ds_store_2addr_b32 v17, v8, v3 offset0:20 offset1:25
	;; [unrolled: 1-line block ×4, first 2 shown]
	v_pack_b32_f16 v1, v93, v97
	v_fmac_f16_e64 v111, 0x34f2, v139
	v_fmac_f16_e32 v120, 0x34f2, v48
	v_pack_b32_f16 v15, v29, v42
	v_pack_b32_f16 v2, v26, v43
	v_fmac_f16_e32 v122, 0x34f2, v54
	v_fmac_f16_e32 v38, 0x34f2, v54
	v_pack_b32_f16 v25, v73, v83
	v_pack_b32_f16 v3, v68, v104
	v_fmac_f16_e64 v141, 0x34f2, v139
	v_fmac_f16_e32 v53, 0x34f2, v48
	v_add3_u32 v7, 0, v36, v32
	v_pack_b32_f16 v4, v45, v4
	v_pack_b32_f16 v8, v103, v106
	ds_store_2addr_b32 v17, v13, v6 offset0:60 offset1:65
	ds_store_2addr_b32 v17, v14, v1 offset0:70 offset1:75
	;; [unrolled: 1-line block ×5, first 2 shown]
	v_mov_b32_e32 v15, v21
	v_pack_b32_f16 v1, v105, v109
	v_pack_b32_f16 v2, v27, v39
	;; [unrolled: 1-line block ×3, first 2 shown]
	v_add3_u32 v4, 0, v20, v32
	v_pack_b32_f16 v0, v5, v0
	v_pack_b32_f16 v5, v111, v120
	v_lshlrev_b32_e32 v20, 1, v16
	v_pack_b32_f16 v6, v116, v122
	v_pack_b32_f16 v8, v24, v38
	;; [unrolled: 1-line block ×3, first 2 shown]
	ds_store_2addr_b32 v7, v1, v2 offset0:120 offset1:130
	ds_store_b32 v7, v3 offset:560
	ds_store_2addr_b32 v4, v0, v5 offset0:100 offset1:110
	ds_store_2addr_b32 v4, v6, v8 offset0:120 offset1:130
	ds_store_b32 v4, v9 offset:560
	v_dual_mov_b32 v1, v21 :: v_dual_lshlrev_b32 v0, 1, v33
	v_lshlrev_b64 v[2:3], 2, v[20:21]
	v_dual_mov_b32 v5, v21 :: v_dual_add_nc_u32 v4, 20, v20
	v_add_nc_u32_e32 v6, 30, v20
	s_delay_alu instid0(VALU_DEP_4)
	v_lshlrev_b64 v[0:1], 2, v[0:1]
	v_mov_b32_e32 v7, v21
	v_add_co_u32 v2, s0, s8, v2
	v_lshlrev_b64 v[4:5], 2, v[4:5]
	v_add_co_ci_u32_e64 v3, s0, s9, v3, s0
	v_add_co_u32 v0, s0, s8, v0
	v_lshlrev_b64 v[6:7], 2, v[6:7]
	v_add_co_ci_u32_e64 v1, s0, s9, v1, s0
	v_add_co_u32 v4, s0, s8, v4
	v_dual_mov_b32 v9, v21 :: v_dual_lshlrev_b32 v8, 1, v34
	v_add_co_ci_u32_e64 v5, s0, s9, v5, s0
	v_add_co_u32 v6, s0, s8, v6
	v_dual_mov_b32 v11, v21 :: v_dual_lshlrev_b32 v10, 1, v35
	v_add_co_ci_u32_e64 v7, s0, s9, v7, s0
	v_lshlrev_b64 v[8:9], 2, v[8:9]
	s_waitcnt lgkmcnt(0)
	s_barrier
	buffer_gl0_inv
	v_mov_b32_e32 v13, v21
	s_clause 0x3
	global_load_b64 v[26:27], v[2:3], off offset:160
	global_load_b64 v[28:29], v[0:1], off offset:160
	;; [unrolled: 1-line block ×4, first 2 shown]
	v_dual_mov_b32 v3, v21 :: v_dual_add_nc_u32 v12, 60, v20
	v_lshlrev_b64 v[10:11], 2, v[10:11]
	v_add_co_u32 v8, s0, s8, v8
	v_add_nc_u32_e32 v14, 0x46, v20
	s_delay_alu instid0(VALU_DEP_4)
	v_lshlrev_b64 v[12:13], 2, v[12:13]
	v_add_co_ci_u32_e64 v9, s0, s9, v9, s0
	v_add_co_u32 v10, s0, s8, v10
	v_or_b32_e32 v2, 0x50, v20
	v_add_co_ci_u32_e64 v11, s0, s9, v11, s0
	v_lshlrev_b64 v[0:1], 2, v[14:15]
	v_add_co_u32 v4, s0, s8, v12
	v_add_nc_u32_e32 v20, 0x5a, v20
	v_add_co_ci_u32_e64 v5, s0, s9, v13, s0
	v_lshlrev_b64 v[2:3], 2, v[2:3]
	v_add_co_u32 v0, s0, s8, v0
	s_clause 0x2
	global_load_b64 v[36:37], v[8:9], off offset:160
	global_load_b64 v[38:39], v[10:11], off offset:160
	;; [unrolled: 1-line block ×3, first 2 shown]
	v_lshlrev_b64 v[4:5], 2, v[20:21]
	v_add_co_ci_u32_e64 v1, s0, s9, v1, s0
	v_add_co_u32 v2, s0, s8, v2
	s_delay_alu instid0(VALU_DEP_1) | instskip(NEXT) | instid1(VALU_DEP_4)
	v_add_co_ci_u32_e64 v3, s0, s9, v3, s0
	v_add_co_u32 v4, s0, s8, v4
	s_delay_alu instid0(VALU_DEP_1)
	v_add_co_ci_u32_e64 v5, s0, s9, v5, s0
	s_clause 0x2
	global_load_b64 v[42:43], v[0:1], off offset:160
	global_load_b64 v[44:45], v[2:3], off offset:160
	;; [unrolled: 1-line block ×3, first 2 shown]
	ds_load_b32 v14, v31
	ds_load_2addr_b32 v[8:9], v17 offset0:5 offset1:10
	ds_load_2addr_b32 v[48:49], v17 offset0:105 offset1:110
	;; [unrolled: 1-line block ×14, first 2 shown]
	ds_load_u16 v31, v17 offset:222
	ds_load_b32 v66, v17 offset:580
	s_waitcnt vmcnt(0) lgkmcnt(0)
	s_barrier
	buffer_gl0_inv
	v_lshrrev_b32_e32 v67, 16, v14
	v_lshrrev_b32_e32 v25, 16, v9
	;; [unrolled: 1-line block ×36, first 2 shown]
	v_mul_f16_e32 v108, v88, v50
	v_mul_f16_e32 v109, v48, v89
	;; [unrolled: 1-line block ×8, first 2 shown]
	v_lshrrev_b32_e32 v90, 16, v26
	v_mul_f16_e32 v112, v52, v94
	v_mul_f16_e32 v113, v54, v95
	;; [unrolled: 1-line block ×5, first 2 shown]
	v_fma_f16 v31, v31, v28, -v108
	v_fma_f16 v69, v69, v29, -v109
	v_fmac_f16_e32 v88, v28, v50
	v_fmac_f16_e32 v89, v48, v29
	v_lshrrev_b32_e32 v96, 16, v36
	v_lshrrev_b32_e32 v98, 16, v38
	;; [unrolled: 1-line block ×4, first 2 shown]
	v_fma_f16 v28, v70, v32, -v92
	v_fma_f16 v29, v71, v33, -v93
	v_mul_f16_e32 v118, v76, v98
	v_lshrrev_b32_e32 v97, 16, v37
	v_lshrrev_b32_e32 v99, 16, v39
	v_mul_f16_e32 v114, v74, v96
	v_mul_f16_e32 v96, v53, v96
	;; [unrolled: 1-line block ×4, first 2 shown]
	v_lshrrev_b32_e32 v102, 16, v42
	v_lshrrev_b32_e32 v103, 16, v43
	v_mul_f16_e32 v121, v79, v101
	v_fmac_f16_e32 v94, v52, v34
	v_fmac_f16_e32 v95, v54, v35
	v_mul_f16_e32 v91, v91, v57
	v_mul_f16_e32 v98, v58, v98
	;; [unrolled: 1-line block ×5, first 2 shown]
	v_fmac_f16_e32 v110, v51, v32
	v_fmac_f16_e32 v111, v49, v33
	;; [unrolled: 1-line block ×4, first 2 shown]
	v_sub_f16_e32 v57, v28, v29
	v_add_f16_e32 v58, v25, v28
	v_add_f16_e32 v28, v28, v29
	v_lshrrev_b32_e32 v104, 16, v44
	v_lshrrev_b32_e32 v107, 16, v47
	v_mul_f16_e32 v115, v75, v97
	v_mul_f16_e32 v97, v55, v97
	;; [unrolled: 1-line block ×8, first 2 shown]
	v_fma_f16 v32, v72, v34, -v112
	v_fma_f16 v33, v73, v35, -v113
	v_fmac_f16_e32 v114, v53, v36
	v_fma_f16 v34, v74, v36, -v96
	v_fma_f16 v36, v26, v86, -v90
	v_fmac_f16_e32 v121, v61, v41
	v_add_f16_e32 v51, v88, v89
	v_add_f16_e32 v61, v94, v95
	v_lshrrev_b32_e32 v105, 16, v45
	v_lshrrev_b32_e32 v106, 16, v46
	v_fmac_f16_e32 v120, v59, v40
	v_fmac_f16_e32 v122, v62, v42
	;; [unrolled: 1-line block ×3, first 2 shown]
	v_sub_f16_e32 v59, v110, v111
	v_fmac_f16_e32 v25, -0.5, v28
	v_mul_f16_e32 v124, v82, v104
	v_mul_f16_e32 v104, v63, v104
	;; [unrolled: 1-line block ×4, first 2 shown]
	v_fmac_f16_e32 v115, v55, v37
	v_fma_f16 v35, v75, v37, -v97
	v_fma_f16 v37, v27, v87, -v91
	v_fmac_f16_e32 v116, v26, v1
	v_fma_f16 v26, v77, v39, -v99
	v_fmac_f16_e32 v119, v60, v39
	v_fma_f16 v27, v78, v40, -v100
	v_fma_f16 v39, v80, v42, -v102
	;; [unrolled: 1-line block ×3, first 2 shown]
	v_add_f16_e32 v48, v67, v36
	v_add_f16_e32 v50, v8, v88
	v_sub_f16_e32 v52, v31, v69
	v_add_f16_e32 v60, v6, v94
	v_sub_f16_e32 v62, v32, v33
	v_fma_f16 v8, -0.5, v51, v8
	v_fma_f16 v6, -0.5, v61, v6
	v_mul_f16_e32 v125, v83, v105
	v_mul_f16_e32 v105, v65, v105
	;; [unrolled: 1-line block ×4, first 2 shown]
	v_fmamk_f16 v51, v59, 0x3aee, v25
	v_fmac_f16_e32 v25, 0xbaee, v59
	v_add_f16_e32 v59, v122, v123
	v_fma_f16 v1, v76, v38, -v98
	v_fma_f16 v38, v79, v41, -v101
	v_fmac_f16_e32 v124, v63, v44
	v_fma_f16 v41, v82, v44, -v104
	v_fmac_f16_e32 v127, v66, v47
	v_fma_f16 v44, v85, v47, -v107
	v_sub_f16_e32 v47, v36, v37
	v_add_f16_e32 v36, v36, v37
	v_add_f16_e32 v37, v48, v37
	v_fmamk_f16 v48, v52, 0xbaee, v8
	v_fmac_f16_e32 v8, 0x3aee, v52
	v_fmamk_f16 v52, v62, 0xbaee, v6
	v_fmac_f16_e32 v6, 0x3aee, v62
	v_add_f16_e32 v62, v39, v40
	v_fmac_f16_e32 v125, v65, v45
	v_fma_f16 v42, v83, v45, -v105
	v_fmac_f16_e32 v126, v56, v46
	v_fma_f16 v43, v84, v46, -v106
	v_add_f16_e32 v45, v14, v116
	v_add_f16_e32 v46, v116, v117
	;; [unrolled: 1-line block ×8, first 2 shown]
	v_fma_f16 v2, -0.5, v59, v2
	v_sub_f16_e32 v59, v39, v40
	v_add_f16_e32 v39, v12, v39
	v_fmac_f16_e32 v12, -0.5, v62
	v_sub_f16_e32 v62, v122, v123
	v_sub_f16_e32 v49, v116, v117
	;; [unrolled: 1-line block ×4, first 2 shown]
	v_add_f16_e32 v81, v13, v27
	v_add_f16_e32 v27, v27, v38
	;; [unrolled: 1-line block ×3, first 2 shown]
	v_fmac_f16_e32 v14, -0.5, v46
	v_fmac_f16_e32 v67, -0.5, v36
	v_add_f16_e32 v36, v50, v89
	v_add_f16_e32 v46, v53, v69
	v_fmac_f16_e32 v68, -0.5, v31
	v_add_f16_e32 v55, v9, v110
	v_sub_f16_e32 v64, v94, v95
	v_fmac_f16_e32 v9, -0.5, v56
	v_fmac_f16_e32 v24, -0.5, v32
	v_add_f16_e32 v39, v39, v40
	v_add_f16_e32 v40, v124, v125
	;; [unrolled: 1-line block ×3, first 2 shown]
	v_fmamk_f16 v63, v59, 0xbaee, v2
	v_fmac_f16_e32 v2, 0x3aee, v59
	v_fmamk_f16 v59, v62, 0x3aee, v12
	v_fmac_f16_e32 v12, 0xbaee, v62
	v_add_f16_e32 v62, v41, v42
	v_add_f16_e32 v65, v7, v114
	;; [unrolled: 1-line block ×3, first 2 shown]
	v_sub_f16_e32 v70, v34, v35
	v_add_f16_e32 v71, v20, v34
	v_add_f16_e32 v34, v34, v35
	;; [unrolled: 1-line block ×4, first 2 shown]
	v_sub_f16_e32 v75, v1, v26
	v_add_f16_e32 v76, v15, v1
	v_add_f16_e32 v1, v1, v26
	v_fmac_f16_e32 v13, -0.5, v27
	v_fmamk_f16 v27, v47, 0xbaee, v14
	v_fmac_f16_e32 v14, 0x3aee, v47
	v_fmamk_f16 v47, v49, 0x3aee, v67
	v_fmac_f16_e32 v67, 0xbaee, v49
	v_fmamk_f16 v49, v54, 0x3aee, v68
	v_pack_b32_f16 v37, v45, v37
	v_pack_b32_f16 v36, v36, v46
	v_fmac_f16_e32 v68, 0xbaee, v54
	v_add_f16_e32 v31, v55, v111
	v_add_f16_e32 v29, v58, v29
	;; [unrolled: 1-line block ×3, first 2 shown]
	v_fmamk_f16 v50, v57, 0xbaee, v9
	v_fmac_f16_e32 v9, 0x3aee, v57
	v_fmamk_f16 v53, v64, 0x3aee, v24
	v_fmac_f16_e32 v24, 0xbaee, v64
	v_add_f16_e32 v64, v3, v124
	v_fmac_f16_e32 v3, -0.5, v40
	v_sub_f16_e32 v40, v41, v42
	v_add_f16_e32 v41, v11, v41
	v_fmac_f16_e32 v11, -0.5, v62
	v_sub_f16_e32 v62, v124, v125
	v_sub_f16_e32 v72, v114, v115
	;; [unrolled: 1-line block ×3, first 2 shown]
	v_add_f16_e32 v78, v5, v120
	v_add_f16_e32 v79, v120, v121
	;; [unrolled: 1-line block ×3, first 2 shown]
	v_fmac_f16_e32 v7, -0.5, v66
	v_add_f16_e32 v35, v71, v35
	v_fmac_f16_e32 v20, -0.5, v34
	v_add_f16_e32 v34, v73, v119
	v_fma_f16 v4, -0.5, v74, v4
	v_add_f16_e32 v26, v76, v26
	v_fmac_f16_e32 v15, -0.5, v1
	v_pack_b32_f16 v27, v27, v47
	ds_store_2addr_b32 v17, v37, v36 offset1:5
	v_pack_b32_f16 v36, v48, v49
	v_pack_b32_f16 v14, v14, v67
	;; [unrolled: 1-line block ×3, first 2 shown]
	v_fmamk_f16 v65, v40, 0xbaee, v3
	v_fmac_f16_e32 v3, 0x3aee, v40
	v_add_f16_e32 v40, v41, v42
	v_add_f16_e32 v41, v126, v127
	v_pack_b32_f16 v29, v31, v29
	v_pack_b32_f16 v9, v9, v25
	;; [unrolled: 1-line block ×3, first 2 shown]
	v_fmamk_f16 v42, v62, 0x3aee, v11
	v_fmac_f16_e32 v11, 0xbaee, v62
	v_add_f16_e32 v62, v43, v44
	v_pack_b32_f16 v31, v50, v51
	v_pack_b32_f16 v28, v52, v53
	;; [unrolled: 1-line block ×3, first 2 shown]
	v_sub_f16_e32 v82, v120, v121
	v_add_f16_e32 v1, v78, v121
	v_fmac_f16_e32 v5, -0.5, v79
	v_fmamk_f16 v54, v70, 0xbaee, v7
	v_fmamk_f16 v55, v72, 0x3aee, v20
	v_fmamk_f16 v56, v75, 0xbaee, v4
	v_fmamk_f16 v57, v77, 0x3aee, v15
	v_add_f16_e32 v38, v81, v38
	v_add_f16_e32 v61, v61, v123
	ds_store_2addr_b32 v17, v27, v36 offset0:50 offset1:55
	ds_store_2addr_b32 v17, v14, v8 offset0:100 offset1:105
	;; [unrolled: 1-line block ×5, first 2 shown]
	v_pack_b32_f16 v6, v32, v35
	v_pack_b32_f16 v8, v34, v26
	v_fmac_f16_e32 v7, 0x3aee, v70
	v_fmac_f16_e32 v20, 0xbaee, v72
	;; [unrolled: 1-line block ×4, first 2 shown]
	v_add_f16_e32 v66, v0, v126
	v_fmac_f16_e32 v0, -0.5, v41
	v_sub_f16_e32 v41, v43, v44
	v_add_f16_e32 v43, v10, v43
	v_fmac_f16_e32 v10, -0.5, v62
	v_sub_f16_e32 v62, v126, v127
	v_fmamk_f16 v58, v80, 0xbaee, v5
	v_fmamk_f16 v60, v82, 0x3aee, v13
	v_pack_b32_f16 v9, v54, v55
	v_pack_b32_f16 v14, v56, v57
	ds_store_2addr_b32 v17, v6, v8 offset0:20 offset1:25
	v_pack_b32_f16 v1, v1, v38
	v_pack_b32_f16 v6, v61, v39
	v_fmac_f16_e32 v5, 0x3aee, v80
	v_fmac_f16_e32 v13, 0xbaee, v82
	v_pack_b32_f16 v7, v7, v20
	v_pack_b32_f16 v4, v4, v15
	v_add_f16_e32 v64, v64, v125
	v_add_f16_e32 v66, v66, v127
	v_fmamk_f16 v69, v41, 0xbaee, v0
	v_fmac_f16_e32 v0, 0x3aee, v41
	v_add_f16_e32 v41, v43, v44
	v_fmamk_f16 v43, v62, 0x3aee, v10
	v_fmac_f16_e32 v10, 0xbaee, v62
	ds_store_2addr_b32 v17, v9, v14 offset0:70 offset1:75
	ds_store_2addr_b32 v17, v7, v4 offset0:120 offset1:125
	v_pack_b32_f16 v4, v58, v60
	ds_store_2addr_b32 v17, v1, v6 offset0:30 offset1:35
	v_pack_b32_f16 v1, v63, v59
	v_pack_b32_f16 v5, v5, v13
	;; [unrolled: 1-line block ×9, first 2 shown]
	ds_store_2addr_b32 v17, v4, v1 offset0:80 offset1:85
	ds_store_2addr_b32 v17, v5, v2 offset0:130 offset1:135
	;; [unrolled: 1-line block ×5, first 2 shown]
	s_waitcnt lgkmcnt(0)
	s_barrier
	buffer_gl0_inv
	s_and_saveexec_b32 s0, vcc_lo
	s_cbranch_execz .LBB0_20
; %bb.19:
	v_mul_lo_u32 v2, s3, v22
	v_mul_lo_u32 v3, s2, v23
	v_mad_u64_u32 v[0:1], null, s2, v22, 0
	v_dual_mov_b32 v17, v21 :: v_dual_add_nc_u32 v20, 5, v16
	v_lshl_add_u32 v30, v16, 2, v30
	ds_load_2addr_b32 v[6:7], v30 offset1:5
	ds_load_2addr_b32 v[8:9], v30 offset0:10 offset1:15
	v_add3_u32 v1, v1, v3, v2
	v_lshlrev_b64 v[2:3], 2, v[18:19]
	v_lshlrev_b64 v[4:5], 2, v[16:17]
	v_lshlrev_b64 v[10:11], 2, v[20:21]
	v_add_nc_u32_e32 v20, 10, v16
	v_lshlrev_b64 v[0:1], 2, v[0:1]
	ds_load_2addr_b32 v[14:15], v30 offset0:20 offset1:25
	ds_load_2addr_b32 v[22:23], v30 offset0:30 offset1:35
	v_add_co_u32 v12, vcc_lo, s6, v0
	v_add_co_ci_u32_e32 v13, vcc_lo, s7, v1, vcc_lo
	v_lshlrev_b64 v[0:1], 2, v[20:21]
	s_delay_alu instid0(VALU_DEP_3) | instskip(NEXT) | instid1(VALU_DEP_3)
	v_add_co_u32 v19, vcc_lo, v12, v2
	v_add_co_ci_u32_e32 v31, vcc_lo, v13, v3, vcc_lo
	v_add_nc_u32_e32 v20, 15, v16
	s_delay_alu instid0(VALU_DEP_3) | instskip(NEXT) | instid1(VALU_DEP_3)
	v_add_co_u32 v2, vcc_lo, v19, v4
	v_add_co_ci_u32_e32 v3, vcc_lo, v31, v5, vcc_lo
	v_add_co_u32 v4, vcc_lo, v19, v10
	v_add_co_ci_u32_e32 v5, vcc_lo, v31, v11, vcc_lo
	v_lshlrev_b64 v[10:11], 2, v[20:21]
	v_add_nc_u32_e32 v20, 20, v16
	v_add_co_u32 v0, vcc_lo, v19, v0
	v_add_co_ci_u32_e32 v1, vcc_lo, v31, v1, vcc_lo
	s_delay_alu instid0(VALU_DEP_3) | instskip(SKIP_3) | instid1(VALU_DEP_3)
	v_lshlrev_b64 v[12:13], 2, v[20:21]
	v_add_nc_u32_e32 v20, 25, v16
	v_add_co_u32 v10, vcc_lo, v19, v10
	v_add_co_ci_u32_e32 v11, vcc_lo, v31, v11, vcc_lo
	v_lshlrev_b64 v[17:18], 2, v[20:21]
	v_add_nc_u32_e32 v20, 30, v16
	v_add_co_u32 v12, vcc_lo, v19, v12
	v_add_co_ci_u32_e32 v13, vcc_lo, v31, v13, vcc_lo
	s_delay_alu instid0(VALU_DEP_3) | instskip(SKIP_3) | instid1(VALU_DEP_3)
	v_lshlrev_b64 v[24:25], 2, v[20:21]
	v_add_nc_u32_e32 v20, 35, v16
	v_add_co_u32 v17, vcc_lo, v19, v17
	v_add_co_ci_u32_e32 v18, vcc_lo, v31, v18, vcc_lo
	v_lshlrev_b64 v[26:27], 2, v[20:21]
	v_add_nc_u32_e32 v20, 40, v16
	v_add_co_u32 v24, vcc_lo, v19, v24
	v_add_co_ci_u32_e32 v25, vcc_lo, v31, v25, vcc_lo
	s_delay_alu instid0(VALU_DEP_3)
	v_lshlrev_b64 v[28:29], 2, v[20:21]
	v_add_nc_u32_e32 v20, 45, v16
	v_add_co_u32 v26, vcc_lo, v19, v26
	v_add_co_ci_u32_e32 v27, vcc_lo, v31, v27, vcc_lo
	s_waitcnt lgkmcnt(3)
	s_clause 0x1
	global_store_b32 v[2:3], v6, off
	global_store_b32 v[4:5], v7, off
	s_waitcnt lgkmcnt(2)
	s_clause 0x1
	global_store_b32 v[0:1], v8, off
	global_store_b32 v[10:11], v9, off
	s_waitcnt lgkmcnt(1)
	s_clause 0x1
	global_store_b32 v[12:13], v14, off
	global_store_b32 v[17:18], v15, off
	s_waitcnt lgkmcnt(0)
	s_clause 0x1
	global_store_b32 v[24:25], v22, off
	global_store_b32 v[26:27], v23, off
	v_lshlrev_b64 v[2:3], 2, v[20:21]
	v_add_nc_u32_e32 v20, 50, v16
	v_add_co_u32 v4, vcc_lo, v19, v28
	v_add_co_ci_u32_e32 v5, vcc_lo, v31, v29, vcc_lo
	s_delay_alu instid0(VALU_DEP_3)
	v_lshlrev_b64 v[6:7], 2, v[20:21]
	v_add_nc_u32_e32 v20, 55, v16
	ds_load_2addr_b32 v[0:1], v30 offset0:40 offset1:45
	v_add_co_u32 v2, vcc_lo, v19, v2
	ds_load_2addr_b32 v[8:9], v30 offset0:50 offset1:55
	ds_load_2addr_b32 v[10:11], v30 offset0:60 offset1:65
	v_lshlrev_b64 v[12:13], 2, v[20:21]
	v_add_nc_u32_e32 v20, 60, v16
	v_add_co_ci_u32_e32 v3, vcc_lo, v31, v3, vcc_lo
	v_add_co_u32 v6, vcc_lo, v19, v6
	s_delay_alu instid0(VALU_DEP_3) | instskip(SKIP_3) | instid1(VALU_DEP_3)
	v_lshlrev_b64 v[14:15], 2, v[20:21]
	v_add_nc_u32_e32 v20, 0x41, v16
	v_add_co_ci_u32_e32 v7, vcc_lo, v31, v7, vcc_lo
	v_add_co_u32 v12, vcc_lo, v19, v12
	v_lshlrev_b64 v[17:18], 2, v[20:21]
	v_add_nc_u32_e32 v20, 0x46, v16
	ds_load_2addr_b32 v[22:23], v30 offset0:70 offset1:75
	v_add_co_ci_u32_e32 v13, vcc_lo, v31, v13, vcc_lo
	v_add_co_u32 v14, vcc_lo, v19, v14
	v_lshlrev_b64 v[24:25], 2, v[20:21]
	v_add_nc_u32_e32 v20, 0x4b, v16
	v_add_co_ci_u32_e32 v15, vcc_lo, v31, v15, vcc_lo
	v_add_co_u32 v17, vcc_lo, v19, v17
	s_delay_alu instid0(VALU_DEP_3) | instskip(SKIP_3) | instid1(VALU_DEP_3)
	v_lshlrev_b64 v[26:27], 2, v[20:21]
	v_add_nc_u32_e32 v20, 0x50, v16
	v_add_co_ci_u32_e32 v18, vcc_lo, v31, v18, vcc_lo
	v_add_co_u32 v24, vcc_lo, v19, v24
	v_lshlrev_b64 v[28:29], 2, v[20:21]
	v_add_nc_u32_e32 v20, 0x55, v16
	v_add_co_ci_u32_e32 v25, vcc_lo, v31, v25, vcc_lo
	v_add_co_u32 v26, vcc_lo, v19, v26
	v_add_co_ci_u32_e32 v27, vcc_lo, v31, v27, vcc_lo
	s_waitcnt lgkmcnt(3)
	s_clause 0x1
	global_store_b32 v[4:5], v0, off
	global_store_b32 v[2:3], v1, off
	s_waitcnt lgkmcnt(2)
	s_clause 0x1
	global_store_b32 v[6:7], v8, off
	global_store_b32 v[12:13], v9, off
	;; [unrolled: 4-line block ×4, first 2 shown]
	v_lshlrev_b64 v[2:3], 2, v[20:21]
	v_add_nc_u32_e32 v20, 0x5a, v16
	v_add_co_u32 v4, vcc_lo, v19, v28
	v_add_co_ci_u32_e32 v5, vcc_lo, v31, v29, vcc_lo
	s_delay_alu instid0(VALU_DEP_3)
	v_lshlrev_b64 v[6:7], 2, v[20:21]
	v_add_nc_u32_e32 v20, 0x5f, v16
	ds_load_2addr_b32 v[0:1], v30 offset0:80 offset1:85
	v_add_co_u32 v2, vcc_lo, v19, v2
	v_add_co_ci_u32_e32 v3, vcc_lo, v31, v3, vcc_lo
	v_lshlrev_b64 v[10:11], 2, v[20:21]
	v_add_nc_u32_e32 v20, 0x64, v16
	ds_load_2addr_b32 v[8:9], v30 offset0:90 offset1:95
	v_add_co_u32 v6, vcc_lo, v19, v6
	ds_load_2addr_b32 v[14:15], v30 offset0:100 offset1:105
	v_lshlrev_b64 v[12:13], 2, v[20:21]
	v_add_nc_u32_e32 v20, 0x69, v16
	v_add_co_ci_u32_e32 v7, vcc_lo, v31, v7, vcc_lo
	v_add_co_u32 v10, vcc_lo, v19, v10
	s_delay_alu instid0(VALU_DEP_3)
	v_lshlrev_b64 v[17:18], 2, v[20:21]
	v_add_nc_u32_e32 v20, 0x6e, v16
	ds_load_2addr_b32 v[22:23], v30 offset0:110 offset1:115
	v_add_co_ci_u32_e32 v11, vcc_lo, v31, v11, vcc_lo
	v_add_co_u32 v12, vcc_lo, v19, v12
	v_lshlrev_b64 v[24:25], 2, v[20:21]
	v_add_nc_u32_e32 v20, 0x73, v16
	v_add_co_ci_u32_e32 v13, vcc_lo, v31, v13, vcc_lo
	v_add_co_u32 v17, vcc_lo, v19, v17
	s_delay_alu instid0(VALU_DEP_3) | instskip(SKIP_3) | instid1(VALU_DEP_3)
	v_lshlrev_b64 v[26:27], 2, v[20:21]
	v_add_nc_u32_e32 v20, 0x78, v16
	v_add_co_ci_u32_e32 v18, vcc_lo, v31, v18, vcc_lo
	v_add_co_u32 v24, vcc_lo, v19, v24
	v_lshlrev_b64 v[28:29], 2, v[20:21]
	v_add_nc_u32_e32 v20, 0x7d, v16
	v_add_co_ci_u32_e32 v25, vcc_lo, v31, v25, vcc_lo
	v_add_co_u32 v26, vcc_lo, v19, v26
	v_add_co_ci_u32_e32 v27, vcc_lo, v31, v27, vcc_lo
	s_waitcnt lgkmcnt(3)
	s_clause 0x1
	global_store_b32 v[4:5], v0, off
	global_store_b32 v[2:3], v1, off
	s_waitcnt lgkmcnt(2)
	s_clause 0x1
	global_store_b32 v[6:7], v8, off
	global_store_b32 v[10:11], v9, off
	;; [unrolled: 4-line block ×4, first 2 shown]
	v_lshlrev_b64 v[2:3], 2, v[20:21]
	v_add_nc_u32_e32 v20, 0x82, v16
	ds_load_2addr_b32 v[0:1], v30 offset0:120 offset1:125
	ds_load_2addr_b32 v[8:9], v30 offset0:130 offset1:135
	v_add_co_u32 v4, vcc_lo, v19, v28
	v_lshlrev_b64 v[6:7], 2, v[20:21]
	v_add_nc_u32_e32 v20, 0x87, v16
	ds_load_2addr_b32 v[12:13], v30 offset0:140 offset1:145
	v_add_co_ci_u32_e32 v5, vcc_lo, v31, v29, vcc_lo
	v_add_co_u32 v2, vcc_lo, v19, v2
	v_lshlrev_b64 v[10:11], 2, v[20:21]
	v_add_nc_u32_e32 v20, 0x8c, v16
	v_add_co_ci_u32_e32 v3, vcc_lo, v31, v3, vcc_lo
	v_add_co_u32 v6, vcc_lo, v19, v6
	s_delay_alu instid0(VALU_DEP_3) | instskip(SKIP_3) | instid1(VALU_DEP_3)
	v_lshlrev_b64 v[14:15], 2, v[20:21]
	v_add_nc_u32_e32 v20, 0x91, v16
	v_add_co_ci_u32_e32 v7, vcc_lo, v31, v7, vcc_lo
	v_add_co_u32 v10, vcc_lo, v19, v10
	v_lshlrev_b64 v[16:17], 2, v[20:21]
	v_add_co_ci_u32_e32 v11, vcc_lo, v31, v11, vcc_lo
	v_add_co_u32 v14, vcc_lo, v19, v14
	v_add_co_ci_u32_e32 v15, vcc_lo, v31, v15, vcc_lo
	s_delay_alu instid0(VALU_DEP_4)
	v_add_co_u32 v16, vcc_lo, v19, v16
	v_add_co_ci_u32_e32 v17, vcc_lo, v31, v17, vcc_lo
	s_waitcnt lgkmcnt(2)
	s_clause 0x1
	global_store_b32 v[4:5], v0, off
	global_store_b32 v[2:3], v1, off
	s_waitcnt lgkmcnt(1)
	s_clause 0x1
	global_store_b32 v[6:7], v8, off
	global_store_b32 v[10:11], v9, off
	s_waitcnt lgkmcnt(0)
	s_clause 0x1
	global_store_b32 v[14:15], v12, off
	global_store_b32 v[16:17], v13, off
.LBB0_20:
	s_nop 0
	s_sendmsg sendmsg(MSG_DEALLOC_VGPRS)
	s_endpgm
	.section	.rodata,"a",@progbits
	.p2align	6, 0x0
	.amdhsa_kernel fft_rtc_back_len150_factors_10_5_3_wgs_60_tpt_5_halfLds_half_op_CI_CI_unitstride_sbrr_C2R_dirReg
		.amdhsa_group_segment_fixed_size 0
		.amdhsa_private_segment_fixed_size 0
		.amdhsa_kernarg_size 104
		.amdhsa_user_sgpr_count 15
		.amdhsa_user_sgpr_dispatch_ptr 0
		.amdhsa_user_sgpr_queue_ptr 0
		.amdhsa_user_sgpr_kernarg_segment_ptr 1
		.amdhsa_user_sgpr_dispatch_id 0
		.amdhsa_user_sgpr_private_segment_size 0
		.amdhsa_wavefront_size32 1
		.amdhsa_uses_dynamic_stack 0
		.amdhsa_enable_private_segment 0
		.amdhsa_system_sgpr_workgroup_id_x 1
		.amdhsa_system_sgpr_workgroup_id_y 0
		.amdhsa_system_sgpr_workgroup_id_z 0
		.amdhsa_system_sgpr_workgroup_info 0
		.amdhsa_system_vgpr_workitem_id 0
		.amdhsa_next_free_vgpr 142
		.amdhsa_next_free_sgpr 27
		.amdhsa_reserve_vcc 1
		.amdhsa_float_round_mode_32 0
		.amdhsa_float_round_mode_16_64 0
		.amdhsa_float_denorm_mode_32 3
		.amdhsa_float_denorm_mode_16_64 3
		.amdhsa_dx10_clamp 1
		.amdhsa_ieee_mode 1
		.amdhsa_fp16_overflow 0
		.amdhsa_workgroup_processor_mode 1
		.amdhsa_memory_ordered 1
		.amdhsa_forward_progress 0
		.amdhsa_shared_vgpr_count 0
		.amdhsa_exception_fp_ieee_invalid_op 0
		.amdhsa_exception_fp_denorm_src 0
		.amdhsa_exception_fp_ieee_div_zero 0
		.amdhsa_exception_fp_ieee_overflow 0
		.amdhsa_exception_fp_ieee_underflow 0
		.amdhsa_exception_fp_ieee_inexact 0
		.amdhsa_exception_int_div_zero 0
	.end_amdhsa_kernel
	.text
.Lfunc_end0:
	.size	fft_rtc_back_len150_factors_10_5_3_wgs_60_tpt_5_halfLds_half_op_CI_CI_unitstride_sbrr_C2R_dirReg, .Lfunc_end0-fft_rtc_back_len150_factors_10_5_3_wgs_60_tpt_5_halfLds_half_op_CI_CI_unitstride_sbrr_C2R_dirReg
                                        ; -- End function
	.section	.AMDGPU.csdata,"",@progbits
; Kernel info:
; codeLenInByte = 15432
; NumSgprs: 29
; NumVgprs: 142
; ScratchSize: 0
; MemoryBound: 0
; FloatMode: 240
; IeeeMode: 1
; LDSByteSize: 0 bytes/workgroup (compile time only)
; SGPRBlocks: 3
; VGPRBlocks: 17
; NumSGPRsForWavesPerEU: 29
; NumVGPRsForWavesPerEU: 142
; Occupancy: 10
; WaveLimiterHint : 1
; COMPUTE_PGM_RSRC2:SCRATCH_EN: 0
; COMPUTE_PGM_RSRC2:USER_SGPR: 15
; COMPUTE_PGM_RSRC2:TRAP_HANDLER: 0
; COMPUTE_PGM_RSRC2:TGID_X_EN: 1
; COMPUTE_PGM_RSRC2:TGID_Y_EN: 0
; COMPUTE_PGM_RSRC2:TGID_Z_EN: 0
; COMPUTE_PGM_RSRC2:TIDIG_COMP_CNT: 0
	.text
	.p2alignl 7, 3214868480
	.fill 96, 4, 3214868480
	.type	__hip_cuid_4bbcc437b3ddc6e9,@object ; @__hip_cuid_4bbcc437b3ddc6e9
	.section	.bss,"aw",@nobits
	.globl	__hip_cuid_4bbcc437b3ddc6e9
__hip_cuid_4bbcc437b3ddc6e9:
	.byte	0                               ; 0x0
	.size	__hip_cuid_4bbcc437b3ddc6e9, 1

	.ident	"AMD clang version 19.0.0git (https://github.com/RadeonOpenCompute/llvm-project roc-6.4.0 25133 c7fe45cf4b819c5991fe208aaa96edf142730f1d)"
	.section	".note.GNU-stack","",@progbits
	.addrsig
	.addrsig_sym __hip_cuid_4bbcc437b3ddc6e9
	.amdgpu_metadata
---
amdhsa.kernels:
  - .args:
      - .actual_access:  read_only
        .address_space:  global
        .offset:         0
        .size:           8
        .value_kind:     global_buffer
      - .offset:         8
        .size:           8
        .value_kind:     by_value
      - .actual_access:  read_only
        .address_space:  global
        .offset:         16
        .size:           8
        .value_kind:     global_buffer
      - .actual_access:  read_only
        .address_space:  global
        .offset:         24
        .size:           8
        .value_kind:     global_buffer
      - .actual_access:  read_only
        .address_space:  global
        .offset:         32
        .size:           8
        .value_kind:     global_buffer
      - .offset:         40
        .size:           8
        .value_kind:     by_value
      - .actual_access:  read_only
        .address_space:  global
        .offset:         48
        .size:           8
        .value_kind:     global_buffer
      - .actual_access:  read_only
        .address_space:  global
        .offset:         56
        .size:           8
        .value_kind:     global_buffer
      - .offset:         64
        .size:           4
        .value_kind:     by_value
      - .actual_access:  read_only
        .address_space:  global
        .offset:         72
        .size:           8
        .value_kind:     global_buffer
      - .actual_access:  read_only
        .address_space:  global
        .offset:         80
        .size:           8
        .value_kind:     global_buffer
      - .actual_access:  read_only
        .address_space:  global
        .offset:         88
        .size:           8
        .value_kind:     global_buffer
      - .actual_access:  write_only
        .address_space:  global
        .offset:         96
        .size:           8
        .value_kind:     global_buffer
    .group_segment_fixed_size: 0
    .kernarg_segment_align: 8
    .kernarg_segment_size: 104
    .language:       OpenCL C
    .language_version:
      - 2
      - 0
    .max_flat_workgroup_size: 60
    .name:           fft_rtc_back_len150_factors_10_5_3_wgs_60_tpt_5_halfLds_half_op_CI_CI_unitstride_sbrr_C2R_dirReg
    .private_segment_fixed_size: 0
    .sgpr_count:     29
    .sgpr_spill_count: 0
    .symbol:         fft_rtc_back_len150_factors_10_5_3_wgs_60_tpt_5_halfLds_half_op_CI_CI_unitstride_sbrr_C2R_dirReg.kd
    .uniform_work_group_size: 1
    .uses_dynamic_stack: false
    .vgpr_count:     142
    .vgpr_spill_count: 0
    .wavefront_size: 32
    .workgroup_processor_mode: 1
amdhsa.target:   amdgcn-amd-amdhsa--gfx1100
amdhsa.version:
  - 1
  - 2
...

	.end_amdgpu_metadata
